;; amdgpu-corpus repo=ROCm/rocFFT kind=compiled arch=gfx1030 opt=O3
	.text
	.amdgcn_target "amdgcn-amd-amdhsa--gfx1030"
	.amdhsa_code_object_version 6
	.protected	bluestein_single_back_len1452_dim1_dp_op_CI_CI ; -- Begin function bluestein_single_back_len1452_dim1_dp_op_CI_CI
	.globl	bluestein_single_back_len1452_dim1_dp_op_CI_CI
	.p2align	8
	.type	bluestein_single_back_len1452_dim1_dp_op_CI_CI,@function
bluestein_single_back_len1452_dim1_dp_op_CI_CI: ; @bluestein_single_back_len1452_dim1_dp_op_CI_CI
; %bb.0:
	s_load_dwordx4 s[16:19], s[4:5], 0x28
	v_mul_u32_u24_e32 v1, 0x1f1, v0
	v_mov_b32_e32 v201, 0
	s_mov_b32 s0, exec_lo
	v_lshrrev_b32_e32 v1, 16, v1
	v_add_nc_u32_e32 v200, s6, v1
	s_waitcnt lgkmcnt(0)
	v_cmpx_gt_u64_e64 s[16:17], v[200:201]
	s_cbranch_execz .LBB0_18
; %bb.1:
	s_clause 0x1
	s_load_dwordx4 s[8:11], s[4:5], 0x18
	s_load_dwordx4 s[12:15], s[4:5], 0x0
	v_mul_lo_u16 v1, 0x84, v1
	s_mov_b32 s26, 0xf8bb580b
	s_mov_b32 s16, 0x43842ef
	;; [unrolled: 1-line block ×4, first 2 shown]
	v_sub_nc_u16 v76, v0, v1
	s_mov_b32 s17, 0xbfefac9e
	s_mov_b32 s25, 0xbfd207e7
	;; [unrolled: 1-line block ×4, first 2 shown]
	v_and_b32_e32 v215, 0xffff, v76
	s_mov_b32 s29, 0x3fe14ced
	s_mov_b32 s34, s24
	;; [unrolled: 1-line block ×4, first 2 shown]
	v_lshlrev_b32_e32 v216, 4, v215
	s_waitcnt lgkmcnt(0)
	s_load_dwordx4 s[20:23], s[8:9], 0x0
	v_add_co_u32 v201, s0, s12, v216
	v_add_co_ci_u32_e64 v202, null, s13, 0, s0
	global_load_dwordx4 v[0:3], v216, s[12:13]
	v_add_co_u32 v4, s9, 0x800, v201
	v_add_co_u32 v8, s7, 0x1800, v201
	;; [unrolled: 1-line block ×5, first 2 shown]
	v_add_co_ci_u32_e64 v5, s9, 0, v202, s9
	v_add_co_ci_u32_e64 v9, s7, 0, v202, s7
	s_waitcnt lgkmcnt(0)
	v_mad_u64_u32 v[37:38], null, s22, v200, 0
	v_mad_u64_u32 v[39:40], null, s20, v215, 0
	v_add_co_ci_u32_e64 v7, s8, 0, v202, s8
	v_add_co_ci_u32_e64 v11, s6, 0, v202, s6
	v_mov_b32_e32 v16, v38
	v_add_co_ci_u32_e64 v13, s3, 0, v202, s3
	v_mov_b32_e32 v17, v40
	v_add_co_u32 v14, s2, 0x3000, v201
	v_add_co_ci_u32_e64 v15, s2, 0, v202, s2
	v_mad_u64_u32 v[18:19], null, s23, v200, v[16:17]
	s_clause 0x1
	global_load_dwordx4 v[28:31], v[4:5], off offset:64
	global_load_dwordx4 v[24:27], v[6:7], off offset:128
	v_add_co_u32 v34, s0, 0x4000, v201
	v_add_co_ci_u32_e64 v35, s0, 0, v202, s0
	v_add_co_u32 v32, s1, 0x3800, v201
	v_mov_b32_e32 v38, v18
	v_mad_u64_u32 v[40:41], null, s21, v215, v[17:18]
	s_clause 0x3
	global_load_dwordx4 v[20:23], v[8:9], off offset:192
	global_load_dwordx4 v[16:19], v[10:11], off offset:256
	;; [unrolled: 1-line block ×4, first 2 shown]
	v_lshlrev_b64 v[12:13], 4, v[37:38]
	v_add_co_ci_u32_e64 v33, s1, 0, v202, s1
	s_mul_i32 s1, s21, 0x840
	v_lshlrev_b64 v[14:15], 4, v[39:40]
	s_mul_hi_u32 s2, s20, 0x840
	v_add_co_u32 v12, s0, s18, v12
	v_add_co_ci_u32_e64 v13, s0, s19, v13, s0
	s_mul_i32 s3, s20, 0x840
	v_add_co_u32 v37, s0, v12, v14
	v_add_co_ci_u32_e64 v38, s0, v13, v15, s0
	s_add_i32 s2, s2, s1
	v_add_co_u32 v39, s0, v37, s3
	v_add_co_ci_u32_e64 v40, s0, s2, v38, s0
	global_load_dwordx4 v[12:15], v[32:33], off offset:448
	v_add_co_u32 v32, s0, v39, s3
	v_add_co_ci_u32_e64 v33, s0, s2, v40, s0
	s_clause 0x1
	global_load_dwordx4 v[44:47], v[37:38], off
	global_load_dwordx4 v[48:51], v[39:40], off
	v_add_co_u32 v36, vcc_lo, 0x4800, v201
	global_load_dwordx4 v[52:55], v[32:33], off
	v_add_co_u32 v37, s0, v32, s3
	v_add_co_ci_u32_e64 v38, s0, s2, v33, s0
	s_mov_b32 s20, 0xbb3a28a1
	s_mov_b32 s21, 0xbfe82f19
	;; [unrolled: 1-line block ×3, first 2 shown]
	global_load_dwordx4 v[56:59], v[37:38], off
	v_add_co_u32 v39, s0, v37, s3
	v_add_co_ci_u32_e64 v40, s0, s2, v38, s0
	s_mov_b32 s12, 0x640f44db
	v_add_co_u32 v32, s0, v39, s3
	v_add_co_ci_u32_e64 v33, s0, s2, v40, s0
	global_load_dwordx4 v[60:63], v[39:40], off
	v_add_co_u32 v37, s0, v32, s3
	v_add_co_ci_u32_e64 v38, s0, s2, v33, s0
	global_load_dwordx4 v[64:67], v[32:33], off
	;; [unrolled: 3-line block ×3, first 2 shown]
	global_load_dwordx4 v[72:75], v[39:40], off
	v_add_co_u32 v32, s0, v39, s3
	v_add_co_ci_u32_e64 v33, s0, s2, v40, s0
	v_add_co_ci_u32_e32 v37, vcc_lo, 0, v202, vcc_lo
	v_add_co_u32 v38, s0, v32, s3
	v_add_co_ci_u32_e64 v39, s0, s2, v33, s0
	v_add_co_u32 v40, vcc_lo, 0x5000, v201
	v_add_co_ci_u32_e32 v41, vcc_lo, 0, v202, vcc_lo
	v_add_co_u32 v85, vcc_lo, v38, s3
	global_load_dwordx4 v[77:80], v[32:33], off
	v_add_co_ci_u32_e32 v86, vcc_lo, s2, v39, vcc_lo
	global_load_dwordx4 v[32:35], v[34:35], off offset:512
	global_load_dwordx4 v[81:84], v[38:39], off
	s_clause 0x1
	global_load_dwordx4 v[36:39], v[36:37], off offset:576
	global_load_dwordx4 v[40:43], v[40:41], off offset:640
	global_load_dwordx4 v[85:88], v[85:86], off
	s_load_dwordx4 s[8:11], s[10:11], 0x0
	s_mov_b32 s3, 0xbfed1bb4
	s_mov_b32 s2, 0x8eee2c13
	s_mov_b32 s0, 0x8764f0ba
	s_mov_b32 s18, 0x7f775887
	s_mov_b32 s22, 0x9bcd5057
	s_mov_b32 s1, 0x3feaeb8c
	s_mov_b32 s7, 0x3fda9628
	s_mov_b32 s13, 0xbfc2375f
	s_mov_b32 s19, 0xbfe4f49e
	s_mov_b32 s23, 0xbfeeb42a
	v_cmp_gt_u16_e32 vcc_lo, 0x58, v76
	s_waitcnt vmcnt(13)
	v_mul_f64 v[89:90], v[46:47], v[2:3]
	v_mul_f64 v[91:92], v[44:45], v[2:3]
	s_waitcnt vmcnt(12)
	v_mul_f64 v[93:94], v[50:51], v[30:31]
	v_mul_f64 v[95:96], v[48:49], v[30:31]
	;; [unrolled: 3-line block ×5, first 2 shown]
	v_fma_f64 v[44:45], v[44:45], v[0:1], v[89:90]
	v_fma_f64 v[46:47], v[46:47], v[0:1], -v[91:92]
	v_fma_f64 v[48:49], v[48:49], v[28:29], v[93:94]
	s_waitcnt vmcnt(8)
	v_mul_f64 v[109:110], v[66:67], v[6:7]
	v_mul_f64 v[111:112], v[64:65], v[6:7]
	v_fma_f64 v[50:51], v[50:51], v[28:29], -v[95:96]
	v_fma_f64 v[52:53], v[52:53], v[24:25], v[97:98]
	v_fma_f64 v[54:55], v[54:55], v[24:25], -v[99:100]
	s_waitcnt vmcnt(7)
	v_mul_f64 v[113:114], v[70:71], v[10:11]
	v_mul_f64 v[115:116], v[68:69], v[10:11]
	s_waitcnt vmcnt(6)
	v_mul_f64 v[117:118], v[74:75], v[14:15]
	v_mul_f64 v[119:120], v[72:73], v[14:15]
	v_fma_f64 v[56:57], v[56:57], v[20:21], v[101:102]
	v_fma_f64 v[58:59], v[58:59], v[20:21], -v[103:104]
	v_fma_f64 v[60:61], v[60:61], v[16:17], v[105:106]
	v_fma_f64 v[62:63], v[62:63], v[16:17], -v[107:108]
	;; [unrolled: 2-line block ×3, first 2 shown]
	s_waitcnt vmcnt(4)
	v_mul_f64 v[121:122], v[79:80], v[34:35]
	v_mul_f64 v[123:124], v[77:78], v[34:35]
	s_waitcnt vmcnt(2)
	v_mul_f64 v[125:126], v[83:84], v[38:39]
	v_mul_f64 v[127:128], v[81:82], v[38:39]
	;; [unrolled: 3-line block ×3, first 2 shown]
	v_fma_f64 v[68:69], v[68:69], v[8:9], v[113:114]
	v_fma_f64 v[70:71], v[70:71], v[8:9], -v[115:116]
	v_fma_f64 v[72:73], v[72:73], v[12:13], v[117:118]
	v_fma_f64 v[74:75], v[74:75], v[12:13], -v[119:120]
	;; [unrolled: 2-line block ×5, first 2 shown]
	ds_write_b128 v216, v[44:47]
	ds_write_b128 v216, v[48:51] offset:2112
	ds_write_b128 v216, v[52:55] offset:4224
	;; [unrolled: 1-line block ×10, first 2 shown]
	s_waitcnt lgkmcnt(0)
	s_barrier
	buffer_gl0_inv
	ds_read_b128 v[52:55], v216
	ds_read_b128 v[60:63], v216 offset:2112
	ds_read_b128 v[56:59], v216 offset:4224
	;; [unrolled: 1-line block ×5, first 2 shown]
	s_waitcnt lgkmcnt(4)
	v_add_f64 v[44:45], v[52:53], v[60:61]
	v_add_f64 v[46:47], v[54:55], v[62:63]
	s_waitcnt lgkmcnt(1)
	v_add_f64 v[103:104], v[56:57], -v[48:49]
	v_add_f64 v[105:106], v[58:59], -v[50:51]
	s_waitcnt lgkmcnt(0)
	v_add_f64 v[109:110], v[66:67], v[70:71]
	v_add_f64 v[99:100], v[56:57], v[48:49]
	;; [unrolled: 1-line block ×6, first 2 shown]
	ds_read_b128 v[44:47], v216 offset:21120
	ds_read_b128 v[72:75], v216 offset:8448
	;; [unrolled: 1-line block ×5, first 2 shown]
	v_mul_f64 v[133:134], v[105:106], s[2:3]
	v_mul_f64 v[141:142], v[103:104], s[2:3]
	;; [unrolled: 1-line block ×8, first 2 shown]
	s_waitcnt lgkmcnt(0)
	s_barrier
	buffer_gl0_inv
	v_add_f64 v[89:90], v[89:90], v[64:65]
	v_add_f64 v[91:92], v[91:92], v[66:67]
	;; [unrolled: 1-line block ×4, first 2 shown]
	v_add_f64 v[115:116], v[72:73], -v[77:78]
	v_add_f64 v[117:118], v[74:75], -v[79:80]
	;; [unrolled: 1-line block ×4, first 2 shown]
	v_add_f64 v[97:98], v[60:61], v[44:45]
	v_add_f64 v[62:63], v[62:63], v[46:47]
	v_add_f64 v[66:67], v[66:67], -v[70:71]
	v_add_f64 v[64:65], v[64:65], -v[68:69]
	v_add_f64 v[60:61], v[81:82], v[85:86]
	v_add_f64 v[56:57], v[83:84], v[87:88]
	v_add_f64 v[58:59], v[81:82], -v[85:86]
	v_fma_f64 v[167:168], v[99:100], s[18:19], -v[135:136]
	v_fma_f64 v[135:136], v[99:100], s[18:19], v[135:136]
	v_fma_f64 v[169:170], v[99:100], s[22:23], -v[137:138]
	v_fma_f64 v[137:138], v[99:100], s[22:23], v[137:138]
	;; [unrolled: 2-line block ×3, first 2 shown]
	v_fma_f64 v[173:174], v[99:100], s[0:1], -v[105:106]
	v_add_f64 v[72:73], v[89:90], v[72:73]
	v_add_f64 v[74:75], v[91:92], v[74:75]
	v_add_f64 v[89:90], v[83:84], -v[87:88]
	v_mul_f64 v[217:218], v[115:116], s[30:31]
	v_mul_f64 v[195:196], v[117:118], s[30:31]
	;; [unrolled: 1-line block ×12, first 2 shown]
	s_mov_b32 s3, 0x3fed1bb4
	v_mul_f64 v[147:148], v[66:67], s[34:35]
	v_mul_f64 v[149:150], v[66:67], s[26:27]
	v_mul_f64 v[151:152], v[66:67], s[20:21]
	v_mul_f64 v[179:180], v[64:65], s[34:35]
	v_mul_f64 v[181:182], v[64:65], s[26:27]
	v_add_f64 v[72:73], v[72:73], v[81:82]
	v_add_f64 v[74:75], v[74:75], v[83:84]
	v_mul_f64 v[81:82], v[103:104], s[30:31]
	v_mul_f64 v[83:84], v[103:104], s[28:29]
	;; [unrolled: 1-line block ×4, first 2 shown]
	v_fma_f64 v[153:154], v[97:98], s[0:1], -v[91:92]
	v_fma_f64 v[155:156], v[62:63], s[0:1], v[119:120]
	v_fma_f64 v[91:92], v[97:98], s[0:1], v[91:92]
	v_fma_f64 v[119:120], v[62:63], s[0:1], -v[119:120]
	v_fma_f64 v[157:158], v[97:98], s[6:7], -v[121:122]
	v_fma_f64 v[159:160], v[62:63], s[6:7], v[123:124]
	v_fma_f64 v[121:122], v[97:98], s[6:7], v[121:122]
	v_fma_f64 v[123:124], v[62:63], s[6:7], -v[123:124]
	;; [unrolled: 4-line block ×3, first 2 shown]
	v_fma_f64 v[165:166], v[62:63], s[22:23], v[95:96]
	v_mul_f64 v[183:184], v[64:65], s[20:21]
	v_fma_f64 v[187:188], v[109:110], s[22:23], v[179:180]
	v_fma_f64 v[179:180], v[109:110], s[22:23], -v[179:180]
	v_add_f64 v[72:73], v[72:73], v[85:86]
	v_add_f64 v[74:75], v[74:75], v[87:88]
	v_fma_f64 v[85:86], v[97:98], s[18:19], -v[129:130]
	v_fma_f64 v[87:88], v[97:98], s[18:19], v[129:130]
	v_fma_f64 v[129:130], v[97:98], s[22:23], -v[93:94]
	v_fma_f64 v[93:94], v[97:98], s[22:23], v[93:94]
	v_fma_f64 v[97:98], v[62:63], s[18:19], v[131:132]
	v_fma_f64 v[131:132], v[62:63], s[18:19], -v[131:132]
	v_fma_f64 v[62:63], v[62:63], s[22:23], -v[95:96]
	;; [unrolled: 1-line block ×3, first 2 shown]
	v_fma_f64 v[133:134], v[99:100], s[6:7], v[133:134]
	v_fma_f64 v[99:100], v[99:100], s[0:1], v[105:106]
	;; [unrolled: 1-line block ×3, first 2 shown]
	v_fma_f64 v[141:142], v[101:102], s[6:7], -v[141:142]
	v_add_f64 v[153:154], v[52:53], v[153:154]
	v_add_f64 v[155:156], v[54:55], v[155:156]
	;; [unrolled: 1-line block ×10, first 2 shown]
	v_fma_f64 v[77:78], v[101:102], s[18:19], v[143:144]
	v_fma_f64 v[79:80], v[101:102], s[18:19], -v[143:144]
	v_fma_f64 v[143:144], v[101:102], s[22:23], v[145:146]
	v_fma_f64 v[145:146], v[101:102], s[22:23], -v[145:146]
	v_add_f64 v[161:162], v[52:53], v[161:162]
	v_add_f64 v[163:164], v[54:55], v[163:164]
	;; [unrolled: 1-line block ×12, first 2 shown]
	v_fma_f64 v[175:176], v[101:102], s[12:13], v[81:82]
	v_fma_f64 v[81:82], v[101:102], s[12:13], -v[81:82]
	v_fma_f64 v[177:178], v[101:102], s[0:1], v[83:84]
	v_fma_f64 v[83:84], v[101:102], s[0:1], -v[83:84]
	v_fma_f64 v[101:102], v[107:108], s[12:13], -v[103:104]
	v_fma_f64 v[103:104], v[107:108], s[12:13], v[103:104]
	v_add_f64 v[52:53], v[72:73], v[68:69]
	v_add_f64 v[54:55], v[74:75], v[70:71]
	v_fma_f64 v[68:69], v[107:108], s[22:23], -v[147:148]
	v_fma_f64 v[70:71], v[107:108], s[22:23], v[147:148]
	v_fma_f64 v[72:73], v[107:108], s[0:1], -v[149:150]
	v_fma_f64 v[74:75], v[107:108], s[0:1], v[149:150]
	;; [unrolled: 2-line block ×4, first 2 shown]
	v_mul_f64 v[107:108], v[64:65], s[16:17]
	v_mul_f64 v[64:65], v[64:65], s[2:3]
	v_fma_f64 v[189:190], v[109:110], s[0:1], v[181:182]
	v_fma_f64 v[181:182], v[109:110], s[0:1], -v[181:182]
	v_fma_f64 v[191:192], v[109:110], s[18:19], v[183:184]
	v_fma_f64 v[183:184], v[109:110], s[18:19], -v[183:184]
	v_mul_f64 v[197:198], v[117:118], s[26:27]
	v_mul_f64 v[203:204], v[117:118], s[24:25]
	v_fma_f64 v[207:208], v[111:112], s[12:13], -v[195:196]
	v_fma_f64 v[195:196], v[111:112], s[12:13], v[195:196]
	v_mul_f64 v[219:220], v[115:116], s[26:27]
	v_mul_f64 v[221:222], v[115:116], s[24:25]
	v_fma_f64 v[225:226], v[113:114], s[12:13], v[217:218]
	v_fma_f64 v[217:218], v[113:114], s[12:13], -v[217:218]
	v_add_f64 v[91:92], v[133:134], v[91:92]
	v_add_f64 v[121:122], v[135:136], v[121:122]
	;; [unrolled: 1-line block ×4, first 2 shown]
	v_mul_f64 v[135:136], v[89:90], s[24:25]
	v_mul_f64 v[137:138], v[89:90], s[28:29]
	;; [unrolled: 1-line block ×3, first 2 shown]
	v_add_f64 v[95:96], v[95:96], v[153:154]
	v_fma_f64 v[185:186], v[109:110], s[12:13], v[107:108]
	v_fma_f64 v[107:108], v[109:110], s[12:13], -v[107:108]
	v_fma_f64 v[193:194], v[109:110], s[6:7], v[64:65]
	v_fma_f64 v[64:65], v[109:110], s[6:7], -v[64:65]
	v_mul_f64 v[109:110], v[117:118], s[20:21]
	v_mul_f64 v[117:118], v[117:118], s[2:3]
	v_fma_f64 v[209:210], v[111:112], s[0:1], -v[197:198]
	v_fma_f64 v[197:198], v[111:112], s[0:1], v[197:198]
	v_fma_f64 v[211:212], v[111:112], s[22:23], -v[203:204]
	v_fma_f64 v[203:204], v[111:112], s[22:23], v[203:204]
	v_fma_f64 v[227:228], v[113:114], s[0:1], v[219:220]
	v_fma_f64 v[219:220], v[113:114], s[0:1], -v[219:220]
	v_fma_f64 v[229:230], v[113:114], s[22:23], v[221:222]
	v_fma_f64 v[221:222], v[113:114], s[22:23], -v[221:222]
	v_add_f64 v[105:106], v[105:106], v[155:156]
	v_add_f64 v[77:78], v[77:78], v[159:160]
	;; [unrolled: 1-line block ×5, first 2 shown]
	v_fma_f64 v[145:146], v[60:61], s[22:23], -v[135:136]
	v_fma_f64 v[135:136], v[60:61], s[22:23], v[135:136]
	v_fma_f64 v[153:154], v[60:61], s[0:1], -v[137:138]
	v_fma_f64 v[137:138], v[60:61], s[0:1], v[137:138]
	v_add_f64 v[79:80], v[79:80], v[123:124]
	v_add_f64 v[123:124], v[169:170], v[161:162]
	v_add_f64 v[93:94], v[99:100], v[93:94]
	v_fma_f64 v[205:206], v[111:112], s[18:19], -v[109:110]
	v_fma_f64 v[109:110], v[111:112], s[18:19], v[109:110]
	v_fma_f64 v[213:214], v[111:112], s[6:7], -v[117:118]
	v_fma_f64 v[111:112], v[111:112], s[6:7], v[117:118]
	v_mul_f64 v[117:118], v[115:116], s[20:21]
	v_mul_f64 v[115:116], v[115:116], s[2:3]
	v_add_f64 v[62:63], v[83:84], v[62:63]
	v_add_f64 v[81:82], v[81:82], v[131:132]
	;; [unrolled: 1-line block ×5, first 2 shown]
	v_mul_f64 v[105:106], v[58:59], s[20:21]
	v_add_f64 v[77:78], v[187:188], v[77:78]
	v_add_f64 v[72:73], v[72:73], v[85:86]
	v_add_f64 v[85:86], v[189:190], v[97:98]
	v_mul_f64 v[97:98], v[58:59], s[24:25]
	v_add_f64 v[103:104], v[193:194], v[133:134]
	v_add_f64 v[70:71], v[70:71], v[121:122]
	;; [unrolled: 1-line block ×9, first 2 shown]
	v_fma_f64 v[223:224], v[113:114], s[18:19], v[117:118]
	v_fma_f64 v[117:118], v[113:114], s[18:19], -v[117:118]
	v_fma_f64 v[231:232], v[113:114], s[6:7], v[115:116]
	v_fma_f64 v[113:114], v[113:114], s[6:7], -v[115:116]
	v_add_f64 v[115:116], v[141:142], v[119:120]
	v_mul_f64 v[141:142], v[89:90], s[20:21]
	v_mul_f64 v[89:90], v[89:90], s[2:3]
	v_add_f64 v[119:120], v[167:168], v[157:158]
	v_fma_f64 v[157:158], v[60:61], s[12:13], -v[143:144]
	v_fma_f64 v[143:144], v[60:61], s[12:13], v[143:144]
	v_add_f64 v[62:63], v[183:184], v[62:63]
	v_add_f64 v[81:82], v[181:182], v[81:82]
	;; [unrolled: 1-line block ×10, first 2 shown]
	v_fma_f64 v[155:156], v[60:61], s[18:19], -v[141:142]
	v_fma_f64 v[141:142], v[60:61], s[18:19], v[141:142]
	v_fma_f64 v[159:160], v[60:61], s[6:7], -v[89:90]
	v_fma_f64 v[89:90], v[60:61], s[6:7], v[89:90]
	v_add_f64 v[60:61], v[139:140], v[87:88]
	v_add_f64 v[87:88], v[173:174], v[129:130]
	;; [unrolled: 1-line block ×3, first 2 shown]
	v_mul_f64 v[107:108], v[58:59], s[16:17]
	v_add_f64 v[68:69], v[68:69], v[119:120]
	v_fma_f64 v[119:120], v[56:57], s[22:23], v[97:98]
	v_fma_f64 v[97:98], v[56:57], s[22:23], -v[97:98]
	v_add_f64 v[111:112], v[113:114], v[62:63]
	v_add_f64 v[113:114], v[221:222], v[81:82]
	;; [unrolled: 1-line block ×5, first 2 shown]
	v_mul_f64 v[74:75], v[58:59], s[28:29]
	v_mul_f64 v[58:59], v[58:59], s[2:3]
	v_add_f64 v[87:88], v[147:148], v[87:88]
	v_add_f64 v[115:116], v[191:192], v[129:130]
	v_fma_f64 v[125:126], v[56:57], s[12:13], v[107:108]
	v_fma_f64 v[107:108], v[56:57], s[12:13], -v[107:108]
	v_add_f64 v[68:69], v[207:208], v[68:69]
	s_load_dwordx2 s[2:3], s[4:5], 0x38
	v_fma_f64 v[121:122], v[56:57], s[0:1], v[74:75]
	v_fma_f64 v[123:124], v[56:57], s[0:1], -v[74:75]
	v_fma_f64 v[74:75], v[56:57], s[18:19], v[105:106]
	v_fma_f64 v[105:106], v[56:57], s[18:19], -v[105:106]
	;; [unrolled: 2-line block ×3, first 2 shown]
	v_add_f64 v[56:57], v[205:206], v[83:84]
	v_add_f64 v[58:59], v[223:224], v[95:96]
	v_add_f64 v[83:84], v[109:110], v[91:92]
	v_add_f64 v[91:92], v[117:118], v[99:100]
	v_add_f64 v[95:96], v[209:210], v[101:102]
	v_add_f64 v[99:100], v[227:228], v[103:104]
	v_add_f64 v[87:88], v[213:214], v[87:88]
	v_add_f64 v[109:110], v[231:232], v[115:116]
	v_add_f64 v[103:104], v[203:204], v[60:61]
	v_add_f64 v[101:102], v[197:198], v[66:67]
	v_add_f64 v[115:116], v[219:220], v[64:65]
	v_add_f64 v[117:118], v[217:218], v[79:80]
	v_add_f64 v[79:80], v[129:130], v[113:114]
	v_add_f64 v[52:53], v[145:146], v[56:57]
	v_add_f64 v[54:55], v[119:120], v[58:59]
	v_add_f64 v[56:57], v[153:154], v[68:69]
	v_add_f64 v[58:59], v[121:122], v[77:78]
	v_add_f64 v[64:65], v[155:156], v[95:96]
	v_add_f64 v[66:67], v[74:75], v[99:100]
	v_add_f64 v[74:75], v[127:128], v[85:86]
	v_add_f64 v[60:61], v[135:136], v[83:84]
	v_add_f64 v[81:82], v[157:158], v[87:88]
	v_add_f64 v[83:84], v[125:126], v[109:110]
	v_add_f64 v[85:86], v[143:144], v[93:94]
	v_add_f64 v[87:88], v[107:108], v[111:112]
	v_add_f64 v[77:78], v[89:90], v[103:104]
	v_add_f64 v[68:69], v[141:142], v[101:102]
	v_add_f64 v[70:71], v[105:106], v[115:116]
	v_add_f64 v[50:51], v[123:124], v[117:118]
	v_add_f64 v[62:63], v[97:98], v[91:92]
	v_mov_b32_e32 v124, 4
	v_mul_lo_u16 v89, v76, 11
                                        ; implicit-def: $vgpr120_vgpr121
	v_lshlrev_b32_sdwa v219, v124, v89 dst_sel:DWORD dst_unused:UNUSED_PAD src0_sel:DWORD src1_sel:WORD_0
	ds_write_b128 v219, v[52:55] offset:16
	ds_write_b128 v219, v[56:59] offset:32
	ds_write_b128 v219, v[64:67] offset:48
	ds_write_b128 v219, v[72:75] offset:64
	ds_write_b128 v219, v[81:84] offset:80
	ds_write_b128 v219, v[85:88] offset:96
	ds_write_b128 v219, v[77:80] offset:112
	ds_write_b128 v219, v[68:71] offset:128
	ds_write_b128 v219, v[48:51] offset:144
	ds_write_b128 v219, v[60:63] offset:160
	ds_write_b128 v219, v[44:47]
	s_waitcnt lgkmcnt(0)
	s_barrier
	buffer_gl0_inv
	ds_read_b128 v[44:47], v216
	ds_read_b128 v[56:59], v216 offset:2112
	ds_read_b128 v[64:67], v216 offset:15488
	;; [unrolled: 1-line block ×8, first 2 shown]
	s_and_saveexec_b32 s0, vcc_lo
	s_cbranch_execz .LBB0_3
; %bb.2:
	ds_read_b128 v[48:51], v216 offset:6336
	ds_read_b128 v[60:63], v216 offset:14080
	;; [unrolled: 1-line block ×3, first 2 shown]
.LBB0_3:
	s_or_b32 exec_lo, exec_lo, s0
	v_and_b32_e32 v76, 0xff, v215
	v_add_co_u32 v78, null, 0x84, v215
	v_mov_b32_e32 v79, 0xba2f
	v_add_co_u32 v203, null, 0x108, v215
	v_mul_lo_u16 v76, 0x75, v76
	s_mov_b32 s0, 0xe8584caa
	v_mul_u32_u24_sdwa v80, v78, v79 dst_sel:DWORD dst_unused:UNUSED_PAD src0_sel:WORD_0 src1_sel:DWORD
	s_mov_b32 s1, 0x3febb67a
	s_mov_b32 s5, 0xbfebb67a
	v_lshrrev_b16 v76, 8, v76
	s_mov_b32 s4, s0
	v_lshrrev_b32_e32 v159, 19, v80
	v_mul_u32_u24_sdwa v80, v203, v79 dst_sel:DWORD dst_unused:UNUSED_PAD src0_sel:WORD_0 src1_sel:DWORD
	v_sub_nc_u16 v77, v215, v76
	v_mul_lo_u16 v81, v159, 11
	v_lshrrev_b32_e32 v161, 19, v80
	v_lshrrev_b16 v77, 1, v77
	v_sub_nc_u16 v162, v78, v81
	v_and_b32_e32 v77, 0x7f, v77
	v_add_nc_u16 v76, v77, v76
	v_add_nc_u16 v77, v215, 0x18c
	v_lshrrev_b16 v160, 3, v76
	v_mul_u32_u24_sdwa v76, v77, v79 dst_sel:DWORD dst_unused:UNUSED_PAD src0_sel:WORD_0 src1_sel:DWORD
	v_lshlrev_b16 v79, 1, v162
	v_mul_lo_u16 v78, v160, 11
	v_lshrrev_b32_e32 v217, 19, v76
	v_mul_lo_u16 v76, v161, 11
	v_sub_nc_u16 v78, v215, v78
	v_mul_lo_u16 v80, v217, 11
	v_sub_nc_u16 v163, v203, v76
	v_lshlrev_b32_sdwa v76, v124, v79 dst_sel:DWORD dst_unused:UNUSED_PAD src0_sel:DWORD src1_sel:WORD_0
	v_and_b32_e32 v164, 0xff, v78
	v_sub_nc_u16 v218, v77, v80
	v_lshlrev_b16 v84, 1, v163
	s_clause 0x1
	global_load_dwordx4 v[80:83], v76, s[14:15]
	global_load_dwordx4 v[76:79], v76, s[14:15] offset:16
	v_lshlrev_b32_e32 v85, 5, v164
	v_lshlrev_b16 v86, 1, v218
	v_lshlrev_b32_sdwa v84, v124, v84 dst_sel:DWORD dst_unused:UNUSED_PAD src0_sel:DWORD src1_sel:WORD_0
	s_clause 0x1
	global_load_dwordx4 v[104:107], v85, s[14:15]
	global_load_dwordx4 v[100:103], v85, s[14:15] offset:16
	v_lshlrev_b32_sdwa v92, v124, v86 dst_sel:DWORD dst_unused:UNUSED_PAD src0_sel:DWORD src1_sel:WORD_0
	s_clause 0x3
	global_load_dwordx4 v[88:91], v84, s[14:15]
	global_load_dwordx4 v[84:87], v84, s[14:15] offset:16
	global_load_dwordx4 v[96:99], v92, s[14:15]
	global_load_dwordx4 v[92:95], v92, s[14:15] offset:16
	s_waitcnt vmcnt(0) lgkmcnt(0)
	s_barrier
	buffer_gl0_inv
	v_mul_f64 v[125:126], v[118:119], v[82:83]
	v_mul_f64 v[127:128], v[116:117], v[82:83]
	;; [unrolled: 1-line block ×16, first 2 shown]
	v_fma_f64 v[116:117], v[116:117], v[80:81], -v[125:126]
	v_fma_f64 v[118:119], v[118:119], v[80:81], v[127:128]
	v_fma_f64 v[112:113], v[112:113], v[76:77], -v[129:130]
	v_fma_f64 v[114:115], v[114:115], v[76:77], v[131:132]
	v_fma_f64 v[108:109], v[108:109], v[104:105], -v[133:134]
	v_fma_f64 v[125:126], v[64:65], v[100:101], -v[135:136]
	v_fma_f64 v[110:111], v[110:111], v[104:105], v[137:138]
	v_fma_f64 v[127:128], v[66:67], v[100:101], v[139:140]
	v_fma_f64 v[68:69], v[68:69], v[88:89], -v[141:142]
	v_fma_f64 v[72:73], v[72:73], v[84:85], -v[143:144]
	v_fma_f64 v[70:71], v[70:71], v[88:89], v[145:146]
	v_fma_f64 v[74:75], v[74:75], v[84:85], v[147:148]
	v_fma_f64 v[64:65], v[60:61], v[96:97], -v[149:150]
	v_fma_f64 v[66:67], v[62:63], v[96:97], v[151:152]
	v_fma_f64 v[60:61], v[120:121], v[92:93], -v[153:154]
	v_fma_f64 v[62:63], v[122:123], v[92:93], v[155:156]
	v_add_f64 v[141:142], v[56:57], v[116:117]
	v_add_f64 v[120:121], v[116:117], v[112:113]
	;; [unrolled: 1-line block ×3, first 2 shown]
	v_add_f64 v[143:144], v[118:119], -v[114:115]
	v_add_f64 v[118:119], v[58:59], v[118:119]
	v_add_f64 v[145:146], v[116:117], -v[112:113]
	v_add_f64 v[129:130], v[108:109], v[125:126]
	;; [unrolled: 2-line block ×3, first 2 shown]
	v_add_f64 v[116:117], v[52:53], v[68:69]
	v_add_f64 v[133:134], v[68:69], v[72:73]
	;; [unrolled: 1-line block ×4, first 2 shown]
	v_add_f64 v[151:152], v[110:111], -v[127:128]
	v_add_f64 v[110:111], v[46:47], v[110:111]
	v_add_f64 v[137:138], v[64:65], v[60:61]
	v_add_f64 v[139:140], v[66:67], v[62:63]
	v_add_f64 v[155:156], v[70:71], -v[74:75]
	v_add_f64 v[157:158], v[68:69], -v[72:73]
	v_fma_f64 v[120:121], v[120:121], -0.5, v[56:57]
	v_fma_f64 v[149:150], v[122:123], -0.5, v[58:59]
	v_add_f64 v[122:123], v[44:45], v[108:109]
	v_add_f64 v[56:57], v[141:142], v[112:113]
	;; [unrolled: 1-line block ×3, first 2 shown]
	v_fma_f64 v[129:130], v[129:130], -0.5, v[44:45]
	v_fma_f64 v[131:132], v[131:132], -0.5, v[46:47]
	v_add_f64 v[46:47], v[66:67], -v[62:63]
	v_fma_f64 v[133:134], v[133:134], -0.5, v[52:53]
	v_add_f64 v[68:69], v[116:117], v[72:73]
	v_fma_f64 v[135:136], v[135:136], -0.5, v[54:55]
	v_add_f64 v[54:55], v[64:65], -v[60:61]
	v_add_f64 v[114:115], v[110:111], v[127:128]
	v_fma_f64 v[44:45], v[137:138], -0.5, v[48:49]
	v_fma_f64 v[52:53], v[139:140], -0.5, v[50:51]
	v_add_f64 v[70:71], v[147:148], v[74:75]
	v_mov_b32_e32 v137, 33
	v_fma_f64 v[72:73], v[143:144], s[0:1], v[120:121]
	v_fma_f64 v[108:109], v[143:144], s[4:5], v[120:121]
	v_add_f64 v[112:113], v[122:123], v[125:126]
	v_fma_f64 v[74:75], v[145:146], s[4:5], v[149:150]
	v_fma_f64 v[110:111], v[145:146], s[0:1], v[149:150]
	;; [unrolled: 1-line block ×10, first 2 shown]
	v_mad_u16 v133, v159, 33, v162
	v_fma_f64 v[152:153], v[46:47], s[4:5], v[44:45]
	v_fma_f64 v[154:155], v[54:55], s[0:1], v[52:53]
	v_mul_u32_u24_sdwa v134, v160, v137 dst_sel:DWORD dst_unused:UNUSED_PAD src0_sel:WORD_0 src1_sel:DWORD
	v_mad_u16 v135, v161, 33, v163
	v_lshlrev_b32_sdwa v221, v124, v133 dst_sel:DWORD dst_unused:UNUSED_PAD src0_sel:DWORD src1_sel:WORD_0
	v_add_lshl_u32 v222, v134, v164, 4
	v_lshlrev_b32_sdwa v220, v124, v135 dst_sel:DWORD dst_unused:UNUSED_PAD src0_sel:DWORD src1_sel:WORD_0
	ds_write_b128 v222, v[112:115]
	ds_write_b128 v222, v[116:119] offset:176
	ds_write_b128 v222, v[120:123] offset:352
	ds_write_b128 v221, v[56:59]
	ds_write_b128 v221, v[72:75] offset:176
	ds_write_b128 v221, v[108:111] offset:352
	;; [unrolled: 3-line block ×3, first 2 shown]
	s_and_saveexec_b32 s4, vcc_lo
	s_cbranch_execz .LBB0_5
; %bb.4:
	v_add_f64 v[50:51], v[50:51], v[66:67]
	v_add_f64 v[48:49], v[48:49], v[64:65]
	v_mul_f64 v[54:55], v[54:55], s[0:1]
	v_mul_f64 v[56:57], v[46:47], s[0:1]
	v_add_f64 v[50:51], v[50:51], v[62:63]
	v_add_f64 v[48:49], v[48:49], v[60:61]
	v_add_f64 v[46:47], v[52:53], -v[54:55]
	v_add_f64 v[44:45], v[56:57], v[44:45]
	v_mad_u16 v52, v217, 33, v218
	v_mov_b32_e32 v53, 4
	v_lshlrev_b32_sdwa v52, v53, v52 dst_sel:DWORD dst_unused:UNUSED_PAD src0_sel:DWORD src1_sel:WORD_0
	ds_write_b128 v52, v[48:51]
	ds_write_b128 v52, v[44:47] offset:176
	ds_write_b128 v52, v[152:155] offset:352
.LBB0_5:
	s_or_b32 exec_lo, exec_lo, s4
	v_and_b32_e32 v44, 0xff, v215
	s_waitcnt lgkmcnt(0)
	s_barrier
	buffer_gl0_inv
	ds_read_b128 v[120:123], v216
	ds_read_b128 v[56:59], v216 offset:2112
	ds_read_b128 v[60:63], v216 offset:4224
	;; [unrolled: 1-line block ×10, first 2 shown]
	v_mul_lo_u16 v44, 0xf9, v44
	s_mov_b32 s4, 0x43842ef
	s_mov_b32 s13, 0xbfed1bb4
	;; [unrolled: 1-line block ×4, first 2 shown]
	v_lshrrev_b16 v168, 13, v44
	s_mov_b32 s16, 0x8764f0ba
	s_mov_b32 s0, 0x640f44db
	;; [unrolled: 1-line block ×4, first 2 shown]
	v_mul_lo_u16 v44, v168, 33
	s_mov_b32 s34, s24
	s_mov_b32 s30, s4
	;; [unrolled: 1-line block ×3, first 2 shown]
	v_sub_nc_u16 v44, v215, v44
	v_and_b32_e32 v169, 0xff, v44
	v_mad_u64_u32 v[170:171], null, 0xa0, v169, s[14:15]
	s_clause 0x3
	global_load_dwordx4 v[44:47], v[170:171], off offset:400
	global_load_dwordx4 v[48:51], v[170:171], off offset:384
	global_load_dwordx4 v[52:55], v[170:171], off offset:368
	global_load_dwordx4 v[68:71], v[170:171], off offset:352
	s_waitcnt vmcnt(0) lgkmcnt(9)
	v_mul_f64 v[124:125], v[58:59], v[70:71]
	v_fma_f64 v[172:173], v[56:57], v[68:69], -v[124:125]
	v_mul_f64 v[56:57], v[56:57], v[70:71]
	v_fma_f64 v[174:175], v[58:59], v[68:69], v[56:57]
	s_waitcnt lgkmcnt(8)
	v_mul_f64 v[56:57], v[62:63], v[54:55]
	v_fma_f64 v[148:149], v[60:61], v[52:53], -v[56:57]
	v_mul_f64 v[56:57], v[60:61], v[54:55]
	v_fma_f64 v[146:147], v[62:63], v[52:53], v[56:57]
	s_waitcnt lgkmcnt(7)
	;; [unrolled: 5-line block ×3, first 2 shown]
	v_mul_f64 v[56:57], v[74:75], v[46:47]
	v_fma_f64 v[136:137], v[72:73], v[44:45], -v[56:57]
	v_mul_f64 v[56:57], v[72:73], v[46:47]
	v_fma_f64 v[128:129], v[74:75], v[44:45], v[56:57]
	s_clause 0x3
	global_load_dwordx4 v[64:67], v[170:171], off offset:464
	global_load_dwordx4 v[60:63], v[170:171], off offset:448
	;; [unrolled: 1-line block ×4, first 2 shown]
	s_waitcnt vmcnt(0) lgkmcnt(5)
	v_mul_f64 v[124:125], v[110:111], v[74:75]
	v_fma_f64 v[130:131], v[108:109], v[72:73], -v[124:125]
	v_mul_f64 v[108:109], v[108:109], v[74:75]
	v_fma_f64 v[124:125], v[110:111], v[72:73], v[108:109]
	s_waitcnt lgkmcnt(4)
	v_mul_f64 v[108:109], v[114:115], v[58:59]
	v_fma_f64 v[132:133], v[112:113], v[56:57], -v[108:109]
	v_mul_f64 v[108:109], v[112:113], v[58:59]
	v_fma_f64 v[126:127], v[114:115], v[56:57], v[108:109]
	s_waitcnt lgkmcnt(3)
	;; [unrolled: 5-line block ×3, first 2 shown]
	v_mul_f64 v[108:109], v[158:159], v[66:67]
	v_add_f64 v[118:119], v[122:123], v[174:175]
	v_fma_f64 v[150:151], v[156:157], v[64:65], -v[108:109]
	v_mul_f64 v[108:109], v[156:157], v[66:67]
	v_add_f64 v[118:119], v[118:119], v[146:147]
	v_fma_f64 v[142:143], v[158:159], v[64:65], v[108:109]
	s_clause 0x1
	global_load_dwordx4 v[108:111], v[170:171], off offset:496
	global_load_dwordx4 v[112:115], v[170:171], off offset:480
	v_add_f64 v[118:119], v[118:119], v[138:139]
	s_waitcnt vmcnt(0) lgkmcnt(0)
	s_barrier
	buffer_gl0_inv
	v_add_f64 v[118:119], v[118:119], v[128:129]
	v_add_f64 v[118:119], v[118:119], v[124:125]
	;; [unrolled: 1-line block ×5, first 2 shown]
	v_mul_f64 v[116:117], v[162:163], v[114:115]
	v_fma_f64 v[156:157], v[160:161], v[112:113], -v[116:117]
	v_mul_f64 v[116:117], v[160:161], v[114:115]
	v_fma_f64 v[158:159], v[162:163], v[112:113], v[116:117]
	v_mul_f64 v[116:117], v[166:167], v[110:111]
	v_add_f64 v[118:119], v[118:119], v[158:159]
	v_fma_f64 v[160:161], v[164:165], v[108:109], -v[116:117]
	v_mul_f64 v[116:117], v[164:165], v[110:111]
	v_add_f64 v[164:165], v[172:173], v[160:161]
	v_fma_f64 v[162:163], v[166:167], v[108:109], v[116:117]
	v_add_f64 v[116:117], v[120:121], v[172:173]
	v_add_f64 v[118:119], v[118:119], v[162:163]
	;; [unrolled: 1-line block ×4, first 2 shown]
	v_add_f64 v[162:163], v[174:175], -v[162:163]
	v_add_f64 v[116:117], v[116:117], v[144:145]
	v_mul_f64 v[170:171], v[162:163], s[26:27]
	v_mul_f64 v[178:179], v[162:163], s[12:13]
	;; [unrolled: 1-line block ×5, first 2 shown]
	v_add_f64 v[116:117], v[116:117], v[136:137]
	v_fma_f64 v[180:181], v[164:165], s[6:7], -v[178:179]
	v_fma_f64 v[178:179], v[164:165], s[6:7], v[178:179]
	v_fma_f64 v[188:189], v[164:165], s[0:1], -v[186:187]
	v_fma_f64 v[186:187], v[164:165], s[0:1], v[186:187]
	;; [unrolled: 2-line block ×4, first 2 shown]
	v_add_f64 v[116:117], v[116:117], v[130:131]
	v_add_f64 v[180:181], v[120:121], v[180:181]
	;; [unrolled: 1-line block ×13, first 2 shown]
	v_add_f64 v[160:161], v[172:173], -v[160:161]
	v_fma_f64 v[172:173], v[164:165], s[16:17], -v[170:171]
	v_fma_f64 v[170:171], v[164:165], s[16:17], v[170:171]
	v_mul_f64 v[174:175], v[160:161], s[26:27]
	v_mul_f64 v[182:183], v[160:161], s[12:13]
	v_mul_f64 v[190:191], v[160:161], s[4:5]
	v_mul_f64 v[198:199], v[160:161], s[20:21]
	v_mul_f64 v[160:161], v[160:161], s[24:25]
	v_add_f64 v[172:173], v[120:121], v[172:173]
	v_add_f64 v[170:171], v[120:121], v[170:171]
	;; [unrolled: 1-line block ×4, first 2 shown]
	v_add_f64 v[146:147], v[146:147], -v[158:159]
	v_fma_f64 v[176:177], v[166:167], s[16:17], v[174:175]
	v_fma_f64 v[174:175], v[166:167], s[16:17], -v[174:175]
	v_fma_f64 v[184:185], v[166:167], s[6:7], v[182:183]
	v_fma_f64 v[182:183], v[166:167], s[6:7], -v[182:183]
	;; [unrolled: 2-line block ×5, first 2 shown]
	v_add_f64 v[176:177], v[122:123], v[176:177]
	v_add_f64 v[174:175], v[122:123], v[174:175]
	v_add_f64 v[184:185], v[122:123], v[184:185]
	v_add_f64 v[182:183], v[122:123], v[182:183]
	v_add_f64 v[192:193], v[122:123], v[192:193]
	v_add_f64 v[190:191], v[122:123], v[190:191]
	v_add_f64 v[204:205], v[122:123], v[204:205]
	v_add_f64 v[198:199], v[122:123], v[198:199]
	v_add_f64 v[208:209], v[122:123], v[208:209]
	v_add_f64 v[122:123], v[122:123], v[160:161]
	v_add_f64 v[160:161], v[148:149], v[156:157]
	v_add_f64 v[148:149], v[148:149], -v[156:157]
	v_mul_f64 v[156:157], v[146:147], s[12:13]
	v_mul_f64 v[164:165], v[148:149], s[12:13]
	v_fma_f64 v[158:159], v[160:161], s[6:7], -v[156:157]
	v_fma_f64 v[156:157], v[160:161], s[6:7], v[156:157]
	s_mov_b32 s13, 0x3fed1bb4
	v_fma_f64 v[166:167], v[162:163], s[6:7], v[164:165]
	v_add_f64 v[158:159], v[158:159], v[172:173]
	v_add_f64 v[156:157], v[156:157], v[170:171]
	v_mul_f64 v[170:171], v[146:147], s[20:21]
	v_fma_f64 v[164:165], v[162:163], s[6:7], -v[164:165]
	v_add_f64 v[166:167], v[166:167], v[176:177]
	v_fma_f64 v[172:173], v[160:161], s[18:19], -v[170:171]
	v_fma_f64 v[170:171], v[160:161], s[18:19], v[170:171]
	v_add_f64 v[164:165], v[164:165], v[174:175]
	v_mul_f64 v[174:175], v[148:149], s[20:21]
	v_add_f64 v[172:173], v[172:173], v[180:181]
	v_add_f64 v[170:171], v[170:171], v[178:179]
	v_mul_f64 v[178:179], v[146:147], s[34:35]
	v_fma_f64 v[176:177], v[162:163], s[18:19], v[174:175]
	v_fma_f64 v[174:175], v[162:163], s[18:19], -v[174:175]
	v_fma_f64 v[180:181], v[160:161], s[22:23], -v[178:179]
	v_fma_f64 v[178:179], v[160:161], s[22:23], v[178:179]
	v_add_f64 v[174:175], v[174:175], v[182:183]
	v_mul_f64 v[182:183], v[148:149], s[34:35]
	v_add_f64 v[176:177], v[176:177], v[184:185]
	v_add_f64 v[180:181], v[180:181], v[188:189]
	;; [unrolled: 1-line block ×3, first 2 shown]
	v_mul_f64 v[186:187], v[146:147], s[30:31]
	v_fma_f64 v[184:185], v[162:163], s[22:23], v[182:183]
	v_fma_f64 v[182:183], v[162:163], s[22:23], -v[182:183]
	v_mul_f64 v[146:147], v[146:147], s[28:29]
	v_fma_f64 v[188:189], v[160:161], s[0:1], -v[186:187]
	v_fma_f64 v[186:187], v[160:161], s[0:1], v[186:187]
	v_add_f64 v[182:183], v[182:183], v[190:191]
	v_mul_f64 v[190:191], v[148:149], s[30:31]
	v_mul_f64 v[148:149], v[148:149], s[28:29]
	v_add_f64 v[184:185], v[184:185], v[192:193]
	v_add_f64 v[188:189], v[188:189], v[196:197]
	;; [unrolled: 1-line block ×3, first 2 shown]
	v_fma_f64 v[194:195], v[160:161], s[16:17], -v[146:147]
	v_fma_f64 v[146:147], v[160:161], s[16:17], v[146:147]
	v_fma_f64 v[196:197], v[162:163], s[16:17], v[148:149]
	;; [unrolled: 1-line block ×3, first 2 shown]
	v_fma_f64 v[190:191], v[162:163], s[0:1], -v[190:191]
	v_add_f64 v[194:195], v[194:195], v[206:207]
	v_add_f64 v[120:121], v[146:147], v[120:121]
	v_fma_f64 v[146:147], v[162:163], s[16:17], -v[148:149]
	v_add_f64 v[148:149], v[138:139], v[142:143]
	v_add_f64 v[138:139], v[138:139], -v[142:143]
	v_add_f64 v[190:191], v[190:191], v[198:199]
	v_add_f64 v[192:193], v[192:193], v[204:205]
	;; [unrolled: 1-line block ×5, first 2 shown]
	v_mul_f64 v[142:143], v[138:139], s[4:5]
	v_add_f64 v[144:145], v[144:145], -v[150:151]
	v_fma_f64 v[150:151], v[146:147], s[0:1], -v[142:143]
	v_fma_f64 v[142:143], v[146:147], s[0:1], v[142:143]
	v_add_f64 v[150:151], v[150:151], v[158:159]
	v_mul_f64 v[158:159], v[144:145], s[4:5]
	v_add_f64 v[142:143], v[142:143], v[156:157]
	v_fma_f64 v[160:161], v[148:149], s[0:1], v[158:159]
	v_fma_f64 v[156:157], v[148:149], s[0:1], -v[158:159]
	v_mul_f64 v[158:159], v[138:139], s[34:35]
	v_add_f64 v[160:161], v[160:161], v[166:167]
	v_add_f64 v[156:157], v[156:157], v[164:165]
	v_fma_f64 v[162:163], v[146:147], s[22:23], -v[158:159]
	v_fma_f64 v[158:159], v[146:147], s[22:23], v[158:159]
	v_mul_f64 v[164:165], v[144:145], s[34:35]
	v_add_f64 v[162:163], v[162:163], v[172:173]
	v_add_f64 v[158:159], v[158:159], v[170:171]
	v_mul_f64 v[170:171], v[138:139], s[12:13]
	v_fma_f64 v[166:167], v[148:149], s[22:23], v[164:165]
	v_fma_f64 v[164:165], v[148:149], s[22:23], -v[164:165]
	v_fma_f64 v[172:173], v[146:147], s[6:7], -v[170:171]
	v_fma_f64 v[170:171], v[146:147], s[6:7], v[170:171]
	v_add_f64 v[164:165], v[164:165], v[174:175]
	v_mul_f64 v[174:175], v[144:145], s[12:13]
	v_add_f64 v[166:167], v[166:167], v[176:177]
	v_add_f64 v[172:173], v[172:173], v[180:181]
	;; [unrolled: 1-line block ×3, first 2 shown]
	v_mul_f64 v[178:179], v[138:139], s[26:27]
	v_fma_f64 v[176:177], v[148:149], s[6:7], v[174:175]
	v_fma_f64 v[174:175], v[148:149], s[6:7], -v[174:175]
	v_mul_f64 v[138:139], v[138:139], s[20:21]
	v_fma_f64 v[180:181], v[146:147], s[16:17], -v[178:179]
	v_fma_f64 v[178:179], v[146:147], s[16:17], v[178:179]
	v_add_f64 v[174:175], v[174:175], v[182:183]
	v_mul_f64 v[182:183], v[144:145], s[26:27]
	v_mul_f64 v[144:145], v[144:145], s[20:21]
	v_add_f64 v[176:177], v[176:177], v[184:185]
	v_add_f64 v[180:181], v[180:181], v[188:189]
	;; [unrolled: 1-line block ×3, first 2 shown]
	v_fma_f64 v[186:187], v[146:147], s[18:19], -v[138:139]
	v_fma_f64 v[138:139], v[146:147], s[18:19], v[138:139]
	v_fma_f64 v[184:185], v[148:149], s[16:17], v[182:183]
	v_fma_f64 v[182:183], v[148:149], s[16:17], -v[182:183]
	v_fma_f64 v[188:189], v[148:149], s[18:19], v[144:145]
	v_add_f64 v[186:187], v[186:187], v[194:195]
	v_add_f64 v[120:121], v[138:139], v[120:121]
	v_fma_f64 v[138:139], v[148:149], s[18:19], -v[144:145]
	v_add_f64 v[148:149], v[128:129], v[134:135]
	v_add_f64 v[128:129], v[128:129], -v[134:135]
	v_add_f64 v[182:183], v[182:183], v[190:191]
	v_add_f64 v[184:185], v[184:185], v[192:193]
	;; [unrolled: 1-line block ×5, first 2 shown]
	v_mul_f64 v[134:135], v[128:129], s[20:21]
	v_add_f64 v[136:137], v[136:137], -v[140:141]
	v_fma_f64 v[140:141], v[138:139], s[18:19], -v[134:135]
	v_fma_f64 v[134:135], v[138:139], s[18:19], v[134:135]
	v_add_f64 v[150:151], v[140:141], v[150:151]
	v_mul_f64 v[140:141], v[136:137], s[20:21]
	v_add_f64 v[190:191], v[134:135], v[142:143]
	v_fma_f64 v[134:135], v[148:149], s[18:19], -v[140:141]
	v_fma_f64 v[144:145], v[148:149], s[18:19], v[140:141]
	v_add_f64 v[192:193], v[134:135], v[156:157]
	v_mul_f64 v[134:135], v[128:129], s[30:31]
	v_add_f64 v[160:161], v[144:145], v[160:161]
	;; [unrolled: 5-line block ×5, first 2 shown]
	v_fma_f64 v[134:135], v[148:149], s[16:17], -v[140:141]
	v_fma_f64 v[142:143], v[148:149], s[16:17], v[140:141]
	v_add_f64 v[174:175], v[134:135], v[174:175]
	v_mul_f64 v[134:135], v[128:129], s[24:25]
	v_mul_f64 v[128:129], v[128:129], s[12:13]
	v_add_f64 v[176:177], v[142:143], v[176:177]
	v_fma_f64 v[140:141], v[138:139], s[22:23], -v[134:135]
	v_fma_f64 v[134:135], v[138:139], s[22:23], v[134:135]
	v_add_f64 v[180:181], v[140:141], v[180:181]
	v_mul_f64 v[140:141], v[136:137], s[24:25]
	v_add_f64 v[178:179], v[134:135], v[178:179]
	v_fma_f64 v[134:135], v[148:149], s[22:23], -v[140:141]
	v_fma_f64 v[142:143], v[148:149], s[22:23], v[140:141]
	v_add_f64 v[140:141], v[130:131], v[132:133]
	v_add_f64 v[132:133], v[130:131], -v[132:133]
	v_add_f64 v[146:147], v[134:135], v[182:183]
	v_fma_f64 v[134:135], v[138:139], s[6:7], -v[128:129]
	v_fma_f64 v[128:129], v[138:139], s[6:7], v[128:129]
	v_add_f64 v[182:183], v[124:125], -v[126:127]
	v_add_f64 v[184:185], v[142:143], v[184:185]
	v_mul_f64 v[130:131], v[132:133], s[28:29]
	v_add_f64 v[144:145], v[134:135], v[186:187]
	v_mul_f64 v[134:135], v[136:137], s[12:13]
	;; [unrolled: 2-line block ×3, first 2 shown]
	v_fma_f64 v[136:137], v[148:149], s[6:7], v[134:135]
	v_fma_f64 v[120:121], v[148:149], s[6:7], -v[134:135]
	v_mul_f64 v[148:149], v[182:183], s[20:21]
	v_add_f64 v[142:143], v[136:137], v[188:189]
	v_add_f64 v[136:137], v[124:125], v[126:127]
	v_mul_f64 v[124:125], v[182:183], s[24:25]
	v_add_f64 v[134:135], v[120:121], v[122:123]
	v_mul_f64 v[126:127], v[132:133], s[24:25]
	v_fma_f64 v[120:121], v[140:141], s[22:23], -v[124:125]
	v_fma_f64 v[124:125], v[140:141], s[22:23], v[124:125]
	v_fma_f64 v[122:123], v[136:137], s[22:23], v[126:127]
	v_add_f64 v[120:121], v[120:121], v[150:151]
	v_add_f64 v[156:157], v[124:125], v[190:191]
	v_fma_f64 v[124:125], v[136:137], s[22:23], -v[126:127]
	v_fma_f64 v[126:127], v[136:137], s[16:17], v[130:131]
	v_mul_f64 v[150:151], v[132:133], s[20:21]
	v_add_f64 v[122:123], v[122:123], v[160:161]
	v_add_f64 v[158:159], v[124:125], v[192:193]
	v_fma_f64 v[124:125], v[140:141], s[16:17], -v[128:129]
	v_fma_f64 v[128:129], v[140:141], s[16:17], v[128:129]
	v_add_f64 v[126:127], v[126:127], v[166:167]
	v_add_f64 v[124:125], v[124:125], v[162:163]
	;; [unrolled: 1-line block ×3, first 2 shown]
	v_fma_f64 v[128:129], v[136:137], s[16:17], -v[130:131]
	v_fma_f64 v[130:131], v[136:137], s[18:19], v[150:151]
	v_add_f64 v[166:167], v[128:129], v[196:197]
	v_fma_f64 v[128:129], v[140:141], s[18:19], -v[148:149]
	v_fma_f64 v[148:149], v[140:141], s[18:19], v[148:149]
	v_add_f64 v[130:131], v[130:131], v[176:177]
	v_mul_f64 v[176:177], v[132:133], s[4:5]
	v_add_f64 v[128:129], v[128:129], v[172:173]
	v_add_f64 v[160:161], v[148:149], v[170:171]
	v_fma_f64 v[148:149], v[136:137], s[18:19], -v[150:151]
	v_mul_f64 v[172:173], v[132:133], s[12:13]
	v_mul_f64 v[170:171], v[182:183], s[12:13]
	v_fma_f64 v[132:133], v[136:137], s[0:1], v[176:177]
	v_add_f64 v[162:163], v[148:149], v[174:175]
	v_fma_f64 v[150:151], v[136:137], s[6:7], v[172:173]
	v_fma_f64 v[172:173], v[136:137], s[6:7], -v[172:173]
	v_mul_f64 v[174:175], v[182:183], s[4:5]
	v_fma_f64 v[148:149], v[140:141], s[6:7], -v[170:171]
	v_fma_f64 v[136:137], v[136:137], s[0:1], -v[176:177]
	v_fma_f64 v[170:171], v[140:141], s[6:7], v[170:171]
	v_add_f64 v[150:151], v[150:151], v[184:185]
	v_add_f64 v[172:173], v[172:173], v[146:147]
	v_fma_f64 v[146:147], v[140:141], s[0:1], -v[174:175]
	v_add_f64 v[148:149], v[148:149], v[180:181]
	v_add_f64 v[134:135], v[136:137], v[134:135]
	;; [unrolled: 1-line block ×3, first 2 shown]
	v_mov_b32_e32 v136, 0x16b
	v_mul_u32_u24_sdwa v136, v168, v136 dst_sel:DWORD dst_unused:UNUSED_PAD src0_sel:WORD_0 src1_sel:DWORD
	v_add_lshl_u32 v223, v136, v169, 4
	v_add_f64 v[144:145], v[146:147], v[144:145]
	v_add_f64 v[146:147], v[132:133], v[142:143]
	v_fma_f64 v[132:133], v[140:141], s[0:1], v[174:175]
	v_cmp_gt_u16_e64 s0, 0x63, v215
	v_add_f64 v[132:133], v[132:133], v[138:139]
	ds_write_b128 v223, v[116:119]
	ds_write_b128 v223, v[120:123] offset:528
	ds_write_b128 v223, v[124:127] offset:1056
	;; [unrolled: 1-line block ×10, first 2 shown]
	s_waitcnt lgkmcnt(0)
	s_barrier
	buffer_gl0_inv
	ds_read_b128 v[168:171], v216
	ds_read_b128 v[196:199], v216 offset:5808
	ds_read_b128 v[192:195], v216 offset:11616
	ds_read_b128 v[184:187], v216 offset:17424
	ds_read_b128 v[172:175], v216 offset:2112
	ds_read_b128 v[188:191], v216 offset:7920
	ds_read_b128 v[180:183], v216 offset:13728
	ds_read_b128 v[176:179], v216 offset:19536
	s_and_saveexec_b32 s1, s0
	s_cbranch_execz .LBB0_7
; %bb.6:
	ds_read_b128 v[160:163], v216 offset:4224
	ds_read_b128 v[164:167], v216 offset:10032
	;; [unrolled: 1-line block ×4, first 2 shown]
.LBB0_7:
	s_or_b32 exec_lo, exec_lo, s1
	v_mad_u64_u32 v[116:117], null, v215, 48, s[14:15]
	v_add_co_u32 v118, s1, 0x1000, v116
	v_add_co_ci_u32_e64 v119, s1, 0, v117, s1
	v_add_co_u32 v120, s1, 0x1600, v116
	v_add_co_ci_u32_e64 v121, s1, 0, v117, s1
	s_clause 0x1
	global_load_dwordx4 v[128:131], v[118:119], off offset:1536
	global_load_dwordx4 v[132:135], v[120:121], off offset:16
	v_add_co_u32 v118, s1, 0x2800, v116
	v_add_co_ci_u32_e64 v119, s1, 0, v117, s1
	v_add_co_u32 v116, s1, 0x2ec0, v116
	v_add_co_ci_u32_e64 v117, s1, 0, v117, s1
	s_clause 0x3
	global_load_dwordx4 v[136:139], v[120:121], off offset:32
	global_load_dwordx4 v[140:143], v[118:119], off offset:1728
	global_load_dwordx4 v[148:151], v[116:117], off offset:16
	global_load_dwordx4 v[144:147], v[116:117], off offset:32
	v_add_nc_u32_e32 v116, 0xffffff9d, v215
	v_cndmask_b32_e64 v116, v116, v203, s0
	v_mul_i32_i24_e32 v117, 48, v116
	v_mul_hi_i32_i24_e32 v116, 48, v116
	v_add_co_u32 v118, s1, s14, v117
	v_add_co_ci_u32_e64 v119, s1, s15, v116, s1
	v_add_co_u32 v116, s1, 0x1000, v118
	v_add_co_ci_u32_e64 v117, s1, 0, v119, s1
	;; [unrolled: 2-line block ×3, first 2 shown]
	s_clause 0x2
	global_load_dwordx4 v[116:119], v[116:117], off offset:1536
	global_load_dwordx4 v[124:127], v[120:121], off offset:16
	;; [unrolled: 1-line block ×3, first 2 shown]
	s_waitcnt vmcnt(8) lgkmcnt(6)
	v_mul_f64 v[203:204], v[198:199], v[130:131]
	v_mul_f64 v[205:206], v[196:197], v[130:131]
	s_waitcnt vmcnt(7) lgkmcnt(5)
	v_mul_f64 v[207:208], v[194:195], v[134:135]
	v_mul_f64 v[209:210], v[192:193], v[134:135]
	s_waitcnt vmcnt(6) lgkmcnt(4)
	v_mul_f64 v[211:212], v[186:187], v[138:139]
	v_mul_f64 v[213:214], v[184:185], v[138:139]
	s_waitcnt vmcnt(5) lgkmcnt(2)
	v_mul_f64 v[224:225], v[190:191], v[142:143]
	v_mul_f64 v[226:227], v[188:189], v[142:143]
	s_waitcnt vmcnt(4) lgkmcnt(1)
	v_mul_f64 v[228:229], v[182:183], v[150:151]
	v_mul_f64 v[230:231], v[180:181], v[150:151]
	s_waitcnt vmcnt(3) lgkmcnt(0)
	v_mul_f64 v[232:233], v[178:179], v[146:147]
	v_mul_f64 v[234:235], v[176:177], v[146:147]
	v_fma_f64 v[196:197], v[196:197], v[128:129], -v[203:204]
	v_fma_f64 v[198:199], v[198:199], v[128:129], v[205:206]
	v_fma_f64 v[192:193], v[192:193], v[132:133], -v[207:208]
	v_fma_f64 v[194:195], v[194:195], v[132:133], v[209:210]
	;; [unrolled: 2-line block ×6, first 2 shown]
	s_waitcnt vmcnt(2)
	v_mul_f64 v[203:204], v[166:167], v[118:119]
	v_mul_f64 v[205:206], v[164:165], v[118:119]
	s_waitcnt vmcnt(1)
	v_mul_f64 v[207:208], v[158:159], v[126:127]
	v_mul_f64 v[209:210], v[156:157], v[126:127]
	v_add_f64 v[192:193], v[168:169], -v[192:193]
	v_add_f64 v[194:195], v[170:171], -v[194:195]
	;; [unrolled: 1-line block ×8, first 2 shown]
	s_waitcnt vmcnt(0)
	v_mul_f64 v[178:179], v[152:153], v[122:123]
	v_mul_f64 v[182:183], v[154:155], v[122:123]
	v_fma_f64 v[164:165], v[164:165], v[116:117], -v[203:204]
	v_fma_f64 v[166:167], v[166:167], v[116:117], v[205:206]
	v_fma_f64 v[156:157], v[156:157], v[124:125], -v[207:208]
	v_fma_f64 v[158:159], v[158:159], v[124:125], v[209:210]
	v_fma_f64 v[203:204], v[168:169], 2.0, -v[192:193]
	v_fma_f64 v[205:206], v[170:171], 2.0, -v[194:195]
	;; [unrolled: 1-line block ×8, first 2 shown]
	v_fma_f64 v[154:155], v[154:155], v[120:121], v[178:179]
	v_fma_f64 v[152:153], v[152:153], v[120:121], -v[182:183]
	v_add_f64 v[178:179], v[213:214], v[180:181]
	v_add_f64 v[172:173], v[192:193], -v[186:187]
	v_add_f64 v[156:157], v[160:161], -v[156:157]
	v_add_f64 v[158:159], v[162:163], -v[158:159]
	v_add_f64 v[174:175], v[194:195], v[184:185]
	v_add_f64 v[176:177], v[211:212], -v[176:177]
	v_add_f64 v[180:181], v[203:204], -v[168:169]
	;; [unrolled: 1-line block ×7, first 2 shown]
	v_fma_f64 v[188:189], v[192:193], 2.0, -v[172:173]
	v_fma_f64 v[190:191], v[194:195], 2.0, -v[174:175]
	;; [unrolled: 1-line block ×8, first 2 shown]
	v_add_f64 v[152:153], v[156:157], -v[170:171]
	v_add_f64 v[154:155], v[158:159], v[168:169]
	ds_write_b128 v216, v[172:175] offset:17424
	ds_write_b128 v216, v[188:191] offset:5808
	ds_write_b128 v216, v[180:183] offset:11616
	ds_write_b128 v216, v[192:195] offset:7920
	ds_write_b128 v216, v[184:187] offset:13728
	ds_write_b128 v216, v[196:199]
	ds_write_b128 v216, v[203:206] offset:2112
	ds_write_b128 v216, v[176:179] offset:19536
	s_and_saveexec_b32 s1, s0
	s_cbranch_execz .LBB0_9
; %bb.8:
	v_fma_f64 v[172:173], v[162:163], 2.0, -v[158:159]
	v_fma_f64 v[162:163], v[166:167], 2.0, -v[170:171]
	v_fma_f64 v[170:171], v[160:161], 2.0, -v[156:157]
	v_fma_f64 v[160:161], v[164:165], 2.0, -v[168:169]
	v_fma_f64 v[158:159], v[158:159], 2.0, -v[154:155]
	v_fma_f64 v[156:157], v[156:157], 2.0, -v[152:153]
	v_add_f64 v[162:163], v[172:173], -v[162:163]
	v_add_f64 v[160:161], v[170:171], -v[160:161]
	v_fma_f64 v[166:167], v[172:173], 2.0, -v[162:163]
	v_fma_f64 v[164:165], v[170:171], 2.0, -v[160:161]
	ds_write_b128 v216, v[156:159] offset:10032
	ds_write_b128 v216, v[160:163] offset:15840
	ds_write_b128 v216, v[164:167] offset:4224
	ds_write_b128 v216, v[152:155] offset:21648
.LBB0_9:
	s_or_b32 exec_lo, exec_lo, s1
	v_add_co_u32 v160, s1, 0x5800, v201
	v_add_co_ci_u32_e64 v161, s1, 0, v202, s1
	s_waitcnt lgkmcnt(0)
	s_barrier
	buffer_gl0_inv
	global_load_dwordx4 v[160:163], v[160:161], off offset:704
	ds_read_b128 v[156:159], v216
	s_mov_b32 s20, 0xf8bb580b
	s_mov_b32 s18, 0x8eee2c13
	;; [unrolled: 1-line block ×28, first 2 shown]
	s_waitcnt vmcnt(0) lgkmcnt(0)
	v_mul_f64 v[164:165], v[158:159], v[162:163]
	v_fma_f64 v[164:165], v[156:157], v[160:161], -v[164:165]
	v_mul_f64 v[156:157], v[156:157], v[162:163]
	v_fma_f64 v[166:167], v[158:159], v[160:161], v[156:157]
	v_add_co_u32 v160, s1, 0x6000, v201
	v_add_co_ci_u32_e64 v161, s1, 0, v202, s1
	ds_read_b128 v[156:159], v216 offset:2112
	global_load_dwordx4 v[160:163], v[160:161], off offset:768
	ds_write_b128 v216, v[164:167]
	s_waitcnt vmcnt(0) lgkmcnt(1)
	v_mul_f64 v[164:165], v[158:159], v[162:163]
	v_fma_f64 v[164:165], v[156:157], v[160:161], -v[164:165]
	v_mul_f64 v[156:157], v[156:157], v[162:163]
	v_fma_f64 v[166:167], v[158:159], v[160:161], v[156:157]
	v_add_co_u32 v160, s1, 0x6800, v201
	v_add_co_ci_u32_e64 v161, s1, 0, v202, s1
	ds_read_b128 v[156:159], v216 offset:4224
	global_load_dwordx4 v[160:163], v[160:161], off offset:832
	ds_write_b128 v216, v[164:167] offset:2112
	s_waitcnt vmcnt(0) lgkmcnt(1)
	v_mul_f64 v[164:165], v[158:159], v[162:163]
	v_fma_f64 v[164:165], v[156:157], v[160:161], -v[164:165]
	v_mul_f64 v[156:157], v[156:157], v[162:163]
	v_fma_f64 v[166:167], v[158:159], v[160:161], v[156:157]
	v_add_co_u32 v160, s1, 0x7000, v201
	v_add_co_ci_u32_e64 v161, s1, 0, v202, s1
	ds_read_b128 v[156:159], v216 offset:6336
	global_load_dwordx4 v[160:163], v[160:161], off offset:896
	ds_write_b128 v216, v[164:167] offset:4224
	;; [unrolled: 10-line block ×9, first 2 shown]
	s_waitcnt vmcnt(0) lgkmcnt(1)
	v_mul_f64 v[164:165], v[158:159], v[162:163]
	v_fma_f64 v[164:165], v[156:157], v[160:161], -v[164:165]
	v_mul_f64 v[156:157], v[156:157], v[162:163]
	v_fma_f64 v[166:167], v[158:159], v[160:161], v[156:157]
	ds_write_b128 v216, v[164:167] offset:21120
	s_waitcnt lgkmcnt(0)
	s_barrier
	buffer_gl0_inv
	ds_read_b128 v[188:191], v216
	ds_read_b128 v[203:206], v216 offset:2112
	ds_read_b128 v[184:187], v216 offset:4224
	;; [unrolled: 1-line block ×10, first 2 shown]
	s_waitcnt lgkmcnt(0)
	s_barrier
	buffer_gl0_inv
	v_add_f64 v[156:157], v[188:189], v[203:204]
	v_add_f64 v[158:159], v[190:191], v[205:206]
	;; [unrolled: 1-line block ×3, first 2 shown]
	v_add_f64 v[198:199], v[203:204], -v[207:208]
	v_add_f64 v[203:204], v[205:206], -v[209:210]
	v_add_f64 v[201:202], v[205:206], v[209:210]
	v_add_f64 v[156:157], v[156:157], v[184:185]
	;; [unrolled: 1-line block ×3, first 2 shown]
	v_mul_f64 v[205:206], v[203:204], s[20:21]
	v_mul_f64 v[213:214], v[203:204], s[18:19]
	;; [unrolled: 1-line block ×8, first 2 shown]
	v_add_f64 v[156:157], v[156:157], v[176:177]
	v_add_f64 v[158:159], v[158:159], v[178:179]
	v_fma_f64 v[224:225], v[196:197], s[14:15], v[213:214]
	v_fma_f64 v[213:214], v[196:197], s[14:15], -v[213:214]
	v_fma_f64 v[232:233], v[196:197], s[6:7], v[230:231]
	v_fma_f64 v[230:231], v[196:197], s[6:7], -v[230:231]
	;; [unrolled: 2-line block ×3, first 2 shown]
	v_fma_f64 v[246:247], v[196:197], s[36:37], v[203:204]
	v_fma_f64 v[228:229], v[198:199], s[16:17], v[226:227]
	;; [unrolled: 1-line block ×4, first 2 shown]
	v_add_f64 v[156:157], v[156:157], v[168:169]
	v_add_f64 v[158:159], v[158:159], v[170:171]
	v_fma_f64 v[234:235], v[198:199], s[4:5], v[234:235]
	v_fma_f64 v[244:245], v[198:199], s[30:31], v[242:243]
	;; [unrolled: 1-line block ×3, first 2 shown]
	v_add_f64 v[224:225], v[188:189], v[224:225]
	v_add_f64 v[213:214], v[188:189], v[213:214]
	;; [unrolled: 1-line block ×25, first 2 shown]
	v_fma_f64 v[207:208], v[196:197], s[22:23], v[205:206]
	v_mul_f64 v[209:210], v[201:202], s[22:23]
	v_fma_f64 v[205:206], v[196:197], s[22:23], -v[205:206]
	v_mul_f64 v[201:202], v[201:202], s[36:37]
	v_fma_f64 v[196:197], v[196:197], s[36:37], -v[203:204]
	v_add_f64 v[207:208], v[188:189], v[207:208]
	v_fma_f64 v[211:212], v[198:199], s[24:25], v[209:210]
	v_add_f64 v[205:206], v[188:189], v[205:206]
	v_fma_f64 v[209:210], v[198:199], s[20:21], v[209:210]
	v_fma_f64 v[248:249], v[198:199], s[38:39], v[201:202]
	v_add_f64 v[188:189], v[188:189], v[196:197]
	v_fma_f64 v[196:197], v[198:199], s[34:35], v[201:202]
	v_add_f64 v[198:199], v[186:187], v[194:195]
	v_add_f64 v[186:187], v[186:187], -v[194:195]
	v_add_f64 v[211:212], v[190:191], v[211:212]
	v_add_f64 v[209:210], v[190:191], v[209:210]
	;; [unrolled: 1-line block ×5, first 2 shown]
	v_add_f64 v[184:185], v[184:185], -v[192:193]
	v_mul_f64 v[192:193], v[186:187], s[18:19]
	v_mul_f64 v[201:202], v[198:199], s[14:15]
	v_fma_f64 v[194:195], v[196:197], s[14:15], v[192:193]
	v_fma_f64 v[192:193], v[196:197], s[14:15], -v[192:193]
	v_fma_f64 v[203:204], v[184:185], s[16:17], v[201:202]
	v_fma_f64 v[201:202], v[184:185], s[18:19], v[201:202]
	v_add_f64 v[194:195], v[194:195], v[207:208]
	v_add_f64 v[192:193], v[192:193], v[205:206]
	v_mul_f64 v[205:206], v[186:187], s[26:27]
	v_add_f64 v[201:202], v[201:202], v[209:210]
	v_mul_f64 v[209:210], v[198:199], s[28:29]
	v_add_f64 v[203:204], v[203:204], v[211:212]
	v_fma_f64 v[207:208], v[196:197], s[28:29], v[205:206]
	v_fma_f64 v[205:206], v[196:197], s[28:29], -v[205:206]
	v_fma_f64 v[211:212], v[184:185], s[30:31], v[209:210]
	v_fma_f64 v[209:210], v[184:185], s[26:27], v[209:210]
	v_add_f64 v[207:208], v[207:208], v[224:225]
	v_add_f64 v[205:206], v[205:206], v[213:214]
	v_mul_f64 v[213:214], v[186:187], s[38:39]
	v_add_f64 v[209:210], v[209:210], v[226:227]
	v_mul_f64 v[226:227], v[198:199], s[36:37]
	v_add_f64 v[211:212], v[211:212], v[228:229]
	v_fma_f64 v[224:225], v[196:197], s[36:37], v[213:214]
	v_fma_f64 v[213:214], v[196:197], s[36:37], -v[213:214]
	v_fma_f64 v[228:229], v[184:185], s[34:35], v[226:227]
	v_fma_f64 v[226:227], v[184:185], s[38:39], v[226:227]
	v_add_f64 v[224:225], v[224:225], v[232:233]
	v_add_f64 v[213:214], v[213:214], v[230:231]
	v_mul_f64 v[230:231], v[186:187], s[12:13]
	v_add_f64 v[226:227], v[226:227], v[234:235]
	v_mul_f64 v[234:235], v[198:199], s[6:7]
	v_mul_f64 v[198:199], v[198:199], s[22:23]
	v_add_f64 v[228:229], v[228:229], v[236:237]
	v_mul_f64 v[186:187], v[186:187], s[24:25]
	v_fma_f64 v[232:233], v[196:197], s[6:7], v[230:231]
	v_fma_f64 v[230:231], v[196:197], s[6:7], -v[230:231]
	v_fma_f64 v[236:237], v[184:185], s[4:5], v[234:235]
	v_fma_f64 v[234:235], v[184:185], s[12:13], v[234:235]
	v_add_f64 v[232:233], v[232:233], v[240:241]
	v_fma_f64 v[240:241], v[184:185], s[20:21], v[198:199]
	v_fma_f64 v[184:185], v[184:185], s[24:25], v[198:199]
	v_add_f64 v[230:231], v[230:231], v[238:239]
	v_fma_f64 v[238:239], v[196:197], s[22:23], v[186:187]
	v_fma_f64 v[186:187], v[196:197], s[22:23], -v[186:187]
	v_add_f64 v[234:235], v[234:235], v[242:243]
	v_add_f64 v[236:237], v[236:237], v[244:245]
	;; [unrolled: 1-line block ×5, first 2 shown]
	v_add_f64 v[178:179], v[178:179], -v[182:183]
	v_add_f64 v[186:187], v[186:187], v[188:189]
	v_add_f64 v[188:189], v[176:177], v[180:181]
	v_add_f64 v[176:177], v[176:177], -v[180:181]
	v_add_f64 v[238:239], v[238:239], v[246:247]
	v_mul_f64 v[180:181], v[178:179], s[4:5]
	v_fma_f64 v[182:183], v[188:189], s[6:7], v[180:181]
	v_fma_f64 v[180:181], v[188:189], s[6:7], -v[180:181]
	v_add_f64 v[182:183], v[182:183], v[194:195]
	v_mul_f64 v[194:195], v[190:191], s[6:7]
	v_add_f64 v[180:181], v[180:181], v[192:193]
	v_fma_f64 v[196:197], v[176:177], s[12:13], v[194:195]
	v_fma_f64 v[192:193], v[176:177], s[4:5], v[194:195]
	v_mul_f64 v[194:195], v[178:179], s[38:39]
	v_add_f64 v[196:197], v[196:197], v[203:204]
	v_add_f64 v[192:193], v[192:193], v[201:202]
	v_fma_f64 v[198:199], v[188:189], s[36:37], v[194:195]
	v_fma_f64 v[194:195], v[188:189], s[36:37], -v[194:195]
	v_mul_f64 v[201:202], v[190:191], s[36:37]
	v_add_f64 v[198:199], v[198:199], v[207:208]
	v_add_f64 v[194:195], v[194:195], v[205:206]
	v_mul_f64 v[205:206], v[178:179], s[16:17]
	v_fma_f64 v[203:204], v[176:177], s[34:35], v[201:202]
	v_fma_f64 v[201:202], v[176:177], s[38:39], v[201:202]
	;; [unrolled: 1-line block ×3, first 2 shown]
	v_fma_f64 v[205:206], v[188:189], s[14:15], -v[205:206]
	v_add_f64 v[201:202], v[201:202], v[209:210]
	v_add_f64 v[203:204], v[203:204], v[211:212]
	;; [unrolled: 1-line block ×3, first 2 shown]
	v_mul_f64 v[207:208], v[190:191], s[14:15]
	v_add_f64 v[213:214], v[205:206], v[213:214]
	v_fma_f64 v[205:206], v[176:177], s[16:17], v[207:208]
	v_fma_f64 v[211:212], v[176:177], s[18:19], v[207:208]
	v_add_f64 v[224:225], v[205:206], v[226:227]
	v_mul_f64 v[205:206], v[178:179], s[20:21]
	v_mul_f64 v[178:179], v[178:179], s[26:27]
	v_add_f64 v[211:212], v[211:212], v[228:229]
	v_fma_f64 v[207:208], v[188:189], s[22:23], v[205:206]
	v_fma_f64 v[205:206], v[188:189], s[22:23], -v[205:206]
	v_add_f64 v[226:227], v[207:208], v[232:233]
	v_mul_f64 v[207:208], v[190:191], s[22:23]
	v_add_f64 v[230:231], v[205:206], v[230:231]
	v_mul_f64 v[190:191], v[190:191], s[28:29]
	v_fma_f64 v[205:206], v[176:177], s[20:21], v[207:208]
	v_fma_f64 v[228:229], v[176:177], s[24:25], v[207:208]
	v_add_f64 v[232:233], v[205:206], v[234:235]
	v_fma_f64 v[205:206], v[188:189], s[28:29], v[178:179]
	v_add_f64 v[228:229], v[228:229], v[236:237]
	v_fma_f64 v[178:179], v[188:189], s[28:29], -v[178:179]
	v_add_f64 v[188:189], v[170:171], v[174:175]
	v_add_f64 v[234:235], v[205:206], v[238:239]
	v_fma_f64 v[205:206], v[176:177], s[30:31], v[190:191]
	v_fma_f64 v[176:177], v[176:177], s[26:27], v[190:191]
	v_add_f64 v[190:191], v[170:171], -v[174:175]
	v_add_f64 v[238:239], v[168:169], v[172:173]
	v_mul_f64 v[174:175], v[188:189], s[28:29]
	v_add_f64 v[186:187], v[178:179], v[186:187]
	v_mul_f64 v[178:179], v[188:189], s[6:7]
	v_add_f64 v[236:237], v[205:206], v[240:241]
	v_add_f64 v[240:241], v[168:169], -v[172:173]
	v_mul_f64 v[172:173], v[190:191], s[26:27]
	v_add_f64 v[184:185], v[176:177], v[184:185]
	v_mul_f64 v[176:177], v[190:191], s[12:13]
	v_fma_f64 v[170:171], v[240:241], s[30:31], v[174:175]
	v_fma_f64 v[168:169], v[238:239], s[28:29], v[172:173]
	v_fma_f64 v[172:173], v[238:239], s[28:29], -v[172:173]
	v_add_f64 v[170:171], v[170:171], v[196:197]
	v_add_f64 v[168:169], v[168:169], v[182:183]
	;; [unrolled: 1-line block ×3, first 2 shown]
	v_fma_f64 v[172:173], v[240:241], s[26:27], v[174:175]
	v_fma_f64 v[174:175], v[240:241], s[4:5], v[178:179]
	v_add_f64 v[205:206], v[172:173], v[192:193]
	v_fma_f64 v[172:173], v[238:239], s[6:7], v[176:177]
	v_fma_f64 v[176:177], v[238:239], s[6:7], -v[176:177]
	v_add_f64 v[174:175], v[174:175], v[203:204]
	v_mul_f64 v[192:193], v[188:189], s[22:23]
	v_add_f64 v[172:173], v[172:173], v[198:199]
	v_add_f64 v[182:183], v[176:177], v[194:195]
	v_fma_f64 v[176:177], v[240:241], s[12:13], v[178:179]
	v_mul_f64 v[178:179], v[190:191], s[20:21]
	v_add_f64 v[203:204], v[176:177], v[201:202]
	v_fma_f64 v[176:177], v[238:239], s[22:23], v[178:179]
	v_fma_f64 v[178:179], v[238:239], s[22:23], -v[178:179]
	v_add_f64 v[180:181], v[176:177], v[209:210]
	v_fma_f64 v[176:177], v[240:241], s[24:25], v[192:193]
	v_fma_f64 v[192:193], v[240:241], s[20:21], v[192:193]
	v_mul_f64 v[209:210], v[188:189], s[36:37]
	v_add_f64 v[178:179], v[178:179], v[213:214]
	v_add_f64 v[213:214], v[162:163], v[166:167]
	;; [unrolled: 1-line block ×4, first 2 shown]
	v_mul_f64 v[192:193], v[190:191], s[34:35]
	v_mul_f64 v[211:212], v[188:189], s[14:15]
	v_add_f64 v[224:225], v[162:163], -v[166:167]
	v_fma_f64 v[194:195], v[238:239], s[36:37], v[192:193]
	v_fma_f64 v[192:193], v[238:239], s[36:37], -v[192:193]
	v_fma_f64 v[188:189], v[240:241], s[18:19], v[211:212]
	v_add_f64 v[198:199], v[194:195], v[226:227]
	v_fma_f64 v[194:195], v[240:241], s[38:39], v[209:210]
	v_add_f64 v[188:189], v[188:189], v[236:237]
	v_add_f64 v[196:197], v[194:195], v[228:229]
	;; [unrolled: 1-line block ×3, first 2 shown]
	v_fma_f64 v[192:193], v[240:241], s[34:35], v[209:210]
	v_mul_f64 v[209:210], v[190:191], s[16:17]
	v_add_f64 v[192:193], v[192:193], v[232:233]
	v_fma_f64 v[190:191], v[238:239], s[14:15], v[209:210]
	v_fma_f64 v[209:210], v[238:239], s[14:15], -v[209:210]
	v_add_f64 v[190:191], v[190:191], v[234:235]
	v_add_f64 v[186:187], v[209:210], v[186:187]
	v_fma_f64 v[209:210], v[240:241], s[16:17], v[211:212]
	v_add_f64 v[211:212], v[160:161], v[164:165]
	v_add_f64 v[184:185], v[209:210], v[184:185]
	v_add_f64 v[209:210], v[160:161], -v[164:165]
	v_mul_f64 v[160:161], v[224:225], s[34:35]
	v_fma_f64 v[162:163], v[211:212], s[36:37], v[160:161]
	v_fma_f64 v[160:161], v[211:212], s[36:37], -v[160:161]
	v_add_f64 v[168:169], v[162:163], v[168:169]
	v_mul_f64 v[162:163], v[213:214], s[36:37]
	v_fma_f64 v[164:165], v[209:210], s[38:39], v[162:163]
	v_add_f64 v[170:171], v[164:165], v[170:171]
	v_add_f64 v[164:165], v[160:161], v[207:208]
	v_fma_f64 v[160:161], v[209:210], s[34:35], v[162:163]
	v_add_f64 v[166:167], v[160:161], v[205:206]
	v_mul_f64 v[160:161], v[224:225], s[24:25]
	v_fma_f64 v[162:163], v[211:212], s[22:23], v[160:161]
	v_fma_f64 v[160:161], v[211:212], s[22:23], -v[160:161]
	v_add_f64 v[172:173], v[162:163], v[172:173]
	v_mul_f64 v[162:163], v[213:214], s[22:23]
	v_add_f64 v[160:161], v[160:161], v[182:183]
	v_fma_f64 v[205:206], v[209:210], s[20:21], v[162:163]
	v_fma_f64 v[162:163], v[209:210], s[24:25], v[162:163]
	v_add_f64 v[174:175], v[205:206], v[174:175]
	v_add_f64 v[162:163], v[162:163], v[203:204]
	v_mul_f64 v[203:204], v[224:225], s[26:27]
	v_mul_f64 v[205:206], v[213:214], s[28:29]
	v_fma_f64 v[182:183], v[211:212], s[28:29], v[203:204]
	v_add_f64 v[180:181], v[182:183], v[180:181]
	v_fma_f64 v[182:183], v[209:210], s[30:31], v[205:206]
	v_add_f64 v[182:183], v[182:183], v[176:177]
	v_fma_f64 v[176:177], v[211:212], s[28:29], -v[203:204]
	v_add_f64 v[176:177], v[176:177], v[178:179]
	v_fma_f64 v[178:179], v[209:210], s[26:27], v[205:206]
	v_mul_f64 v[205:206], v[224:225], s[16:17]
	v_add_f64 v[178:179], v[178:179], v[201:202]
	v_fma_f64 v[201:202], v[211:212], s[14:15], v[205:206]
	v_add_f64 v[201:202], v[201:202], v[198:199]
	v_mul_f64 v[198:199], v[213:214], s[14:15]
	v_fma_f64 v[203:204], v[209:210], s[18:19], v[198:199]
	v_add_f64 v[203:204], v[203:204], v[196:197]
	v_fma_f64 v[196:197], v[211:212], s[14:15], -v[205:206]
	v_mul_f64 v[205:206], v[213:214], s[6:7]
	v_add_f64 v[194:195], v[196:197], v[194:195]
	v_fma_f64 v[196:197], v[209:210], s[16:17], v[198:199]
	v_mul_f64 v[198:199], v[224:225], s[4:5]
	v_add_f64 v[196:197], v[196:197], v[192:193]
	v_fma_f64 v[192:193], v[211:212], s[6:7], v[198:199]
	v_add_f64 v[190:191], v[192:193], v[190:191]
	v_fma_f64 v[192:193], v[209:210], s[12:13], v[205:206]
	v_add_f64 v[192:193], v[192:193], v[188:189]
	v_fma_f64 v[188:189], v[211:212], s[6:7], -v[198:199]
	v_add_f64 v[186:187], v[188:189], v[186:187]
	v_fma_f64 v[188:189], v[209:210], s[4:5], v[205:206]
	v_add_f64 v[188:189], v[188:189], v[184:185]
	ds_write_b128 v219, v[156:159]
	ds_write_b128 v219, v[168:171] offset:16
	ds_write_b128 v219, v[172:175] offset:32
	;; [unrolled: 1-line block ×10, first 2 shown]
	s_waitcnt lgkmcnt(0)
	s_barrier
	buffer_gl0_inv
	ds_read_b128 v[156:159], v216
	ds_read_b128 v[180:183], v216 offset:7744
	ds_read_b128 v[176:179], v216 offset:15488
	;; [unrolled: 1-line block ×8, first 2 shown]
	s_and_saveexec_b32 s1, vcc_lo
	s_cbranch_execz .LBB0_11
; %bb.10:
	ds_read_b128 v[160:163], v216 offset:6336
	ds_read_b128 v[164:167], v216 offset:14080
	ds_read_b128 v[152:155], v216 offset:21824
.LBB0_11:
	s_or_b32 exec_lo, exec_lo, s1
	s_waitcnt lgkmcnt(7)
	v_mul_f64 v[201:202], v[106:107], v[182:183]
	v_mul_f64 v[106:107], v[106:107], v[180:181]
	s_waitcnt lgkmcnt(6)
	v_mul_f64 v[203:204], v[102:103], v[178:179]
	v_mul_f64 v[102:103], v[102:103], v[176:177]
	s_waitcnt lgkmcnt(4)
	v_mul_f64 v[205:206], v[82:83], v[186:187]
	v_mul_f64 v[82:83], v[82:83], v[184:185]
	s_waitcnt lgkmcnt(3)
	v_mul_f64 v[207:208], v[78:79], v[190:191]
	v_mul_f64 v[78:79], v[78:79], v[188:189]
	s_waitcnt lgkmcnt(1)
	v_mul_f64 v[209:210], v[90:91], v[198:199]
	v_mul_f64 v[90:91], v[90:91], v[196:197]
	s_waitcnt lgkmcnt(0)
	v_mul_f64 v[211:212], v[86:87], v[194:195]
	v_mul_f64 v[86:87], v[86:87], v[192:193]
	v_mul_f64 v[213:214], v[98:99], v[166:167]
	v_mul_f64 v[98:99], v[98:99], v[164:165]
	;; [unrolled: 1-line block ×4, first 2 shown]
	s_mov_b32 s6, 0xe8584caa
	s_mov_b32 s7, 0xbfebb67a
	;; [unrolled: 1-line block ×4, first 2 shown]
	s_barrier
	v_fma_f64 v[180:181], v[104:105], v[180:181], v[201:202]
	v_fma_f64 v[104:105], v[104:105], v[182:183], -v[106:107]
	v_fma_f64 v[106:107], v[100:101], v[176:177], v[203:204]
	v_fma_f64 v[100:101], v[100:101], v[178:179], -v[102:103]
	;; [unrolled: 2-line block ×8, first 2 shown]
	buffer_gl0_inv
	v_add_f64 v[166:167], v[156:157], v[180:181]
	v_add_f64 v[90:91], v[180:181], v[106:107]
	;; [unrolled: 1-line block ×3, first 2 shown]
	v_add_f64 v[186:187], v[104:105], -v[100:101]
	v_add_f64 v[104:105], v[158:159], v[104:105]
	v_add_f64 v[94:95], v[102:103], v[178:179]
	;; [unrolled: 1-line block ×11, first 2 shown]
	v_add_f64 v[198:199], v[88:89], -v[184:185]
	v_add_f64 v[78:79], v[78:79], -v[182:183]
	v_add_f64 v[180:181], v[180:181], -v[106:107]
	v_add_f64 v[176:177], v[176:177], -v[76:77]
	v_add_f64 v[196:197], v[102:103], -v[178:179]
	v_fma_f64 v[156:157], v[90:91], -0.5, v[156:157]
	v_fma_f64 v[158:159], v[92:93], -0.5, v[158:159]
	v_add_f64 v[90:91], v[86:87], -v[84:85]
	v_fma_f64 v[168:169], v[94:95], -0.5, v[168:169]
	v_add_f64 v[94:95], v[82:83], -v[80:81]
	v_fma_f64 v[170:171], v[96:97], -0.5, v[170:171]
	v_add_f64 v[96:97], v[166:167], v[106:107]
	v_fma_f64 v[201:202], v[98:99], -0.5, v[172:173]
	v_fma_f64 v[203:204], v[152:153], -0.5, v[174:175]
	v_add_f64 v[98:99], v[104:105], v[100:101]
	v_add_f64 v[100:101], v[188:189], v[178:179]
	v_fma_f64 v[88:89], v[154:155], -0.5, v[160:161]
	v_fma_f64 v[92:93], v[164:165], -0.5, v[162:163]
	v_add_f64 v[102:103], v[190:191], v[76:77]
	v_add_f64 v[104:105], v[192:193], v[182:183]
	;; [unrolled: 1-line block ×3, first 2 shown]
	v_fma_f64 v[152:153], v[186:187], s[6:7], v[156:157]
	v_fma_f64 v[154:155], v[180:181], s[4:5], v[158:159]
	;; [unrolled: 1-line block ×14, first 2 shown]
	ds_write_b128 v222, v[96:99]
	ds_write_b128 v222, v[152:155] offset:176
	ds_write_b128 v222, v[156:159] offset:352
	ds_write_b128 v221, v[100:103]
	ds_write_b128 v221, v[164:167] offset:176
	ds_write_b128 v221, v[168:171] offset:352
	;; [unrolled: 3-line block ×3, first 2 shown]
	s_and_saveexec_b32 s1, vcc_lo
	s_cbranch_execz .LBB0_13
; %bb.12:
	v_add_f64 v[86:87], v[86:87], v[162:163]
	v_add_f64 v[96:97], v[160:161], v[82:83]
	v_mul_f64 v[94:95], v[94:95], s[4:5]
	v_mul_f64 v[90:91], v[90:91], s[4:5]
	v_add_f64 v[86:87], v[84:85], v[86:87]
	v_add_f64 v[84:85], v[80:81], v[96:97]
	;; [unrolled: 1-line block ×3, first 2 shown]
	v_add_f64 v[80:81], v[88:89], -v[90:91]
	v_mad_u16 v88, v217, 33, v218
	v_mov_b32_e32 v89, 4
	v_lshlrev_b32_sdwa v88, v89, v88 dst_sel:DWORD dst_unused:UNUSED_PAD src0_sel:DWORD src1_sel:WORD_0
	ds_write_b128 v88, v[84:87]
	ds_write_b128 v88, v[80:83] offset:176
	ds_write_b128 v88, v[76:79] offset:352
.LBB0_13:
	s_or_b32 exec_lo, exec_lo, s1
	s_waitcnt lgkmcnt(0)
	s_barrier
	buffer_gl0_inv
	ds_read_b128 v[84:87], v216 offset:2112
	ds_read_b128 v[80:83], v216
	ds_read_b128 v[88:91], v216 offset:4224
	ds_read_b128 v[92:95], v216 offset:6336
	ds_read_b128 v[96:99], v216 offset:8448
	ds_read_b128 v[100:103], v216 offset:10560
	ds_read_b128 v[104:107], v216 offset:12672
	ds_read_b128 v[152:155], v216 offset:14784
	ds_read_b128 v[156:159], v216 offset:16896
	ds_read_b128 v[160:163], v216 offset:19008
	ds_read_b128 v[164:167], v216 offset:21120
	s_mov_b32 s6, 0xf8bb580b
	s_mov_b32 s12, 0x8764f0ba
	;; [unrolled: 1-line block ×9, first 2 shown]
	s_waitcnt lgkmcnt(10)
	v_mul_f64 v[168:169], v[70:71], v[86:87]
	v_mul_f64 v[70:71], v[70:71], v[84:85]
	s_waitcnt lgkmcnt(8)
	v_mul_f64 v[172:173], v[54:55], v[90:91]
	v_mul_f64 v[54:55], v[54:55], v[88:89]
	;; [unrolled: 3-line block ×3, first 2 shown]
	s_mov_b32 s18, 0xd9c712b6
	s_waitcnt lgkmcnt(3)
	v_mul_f64 v[180:181], v[62:63], v[154:155]
	s_waitcnt lgkmcnt(2)
	v_mul_f64 v[174:175], v[66:67], v[158:159]
	v_mul_f64 v[66:67], v[66:67], v[156:157]
	s_waitcnt lgkmcnt(0)
	v_mul_f64 v[170:171], v[110:111], v[164:165]
	v_mul_f64 v[62:63], v[62:63], v[152:153]
	s_mov_b32 s24, 0xbb3a28a1
	s_mov_b32 s15, 0xbfed1bb4
	s_mov_b32 s19, 0x3fda9628
	s_mov_b32 s25, 0xbfe82f19
	s_mov_b32 s30, 0xfd768dbf
	s_mov_b32 s5, 0x3fe14ced
	s_mov_b32 s31, 0xbfd207e7
	s_mov_b32 s4, s6
	s_mov_b32 s27, 0x3fefac9e
	s_mov_b32 s26, s20
	v_fma_f64 v[84:85], v[68:69], v[84:85], v[168:169]
	v_fma_f64 v[68:69], v[68:69], v[86:87], -v[70:71]
	v_mul_f64 v[70:71], v[110:111], v[166:167]
	v_mul_f64 v[86:87], v[114:115], v[162:163]
	;; [unrolled: 1-line block ×5, first 2 shown]
	v_fma_f64 v[88:89], v[52:53], v[88:89], v[172:173]
	v_fma_f64 v[52:53], v[52:53], v[90:91], -v[54:55]
	s_mov_b32 s38, s30
	v_fma_f64 v[46:47], v[108:109], v[166:167], -v[170:171]
	v_mul_f64 v[166:167], v[74:75], v[102:103]
	v_mul_f64 v[74:75], v[74:75], v[100:101]
	;; [unrolled: 1-line block ×4, first 2 shown]
	s_mov_b32 s16, s14
	s_mov_b32 s35, 0x3fe82f19
	;; [unrolled: 1-line block ×3, first 2 shown]
	s_barrier
	buffer_gl0_inv
	v_add_f64 v[54:55], v[80:81], v[84:85]
	v_add_f64 v[90:91], v[82:83], v[68:69]
	v_fma_f64 v[50:51], v[108:109], v[164:165], v[70:71]
	v_fma_f64 v[70:71], v[112:113], v[160:161], v[86:87]
	v_fma_f64 v[86:87], v[112:113], v[162:163], -v[110:111]
	v_fma_f64 v[92:93], v[48:49], v[92:93], v[114:115]
	v_fma_f64 v[48:49], v[48:49], v[94:95], -v[168:169]
	;; [unrolled: 2-line block ×7, first 2 shown]
	v_add_f64 v[62:63], v[68:69], -v[46:47]
	v_add_f64 v[68:69], v[68:69], v[46:47]
	v_add_f64 v[54:55], v[54:55], v[88:89]
	;; [unrolled: 1-line block ×4, first 2 shown]
	v_add_f64 v[84:85], v[84:85], -v[50:51]
	v_add_f64 v[102:103], v[52:53], -v[86:87]
	v_add_f64 v[52:53], v[52:53], v[86:87]
	v_add_f64 v[100:101], v[88:89], v[70:71]
	;; [unrolled: 1-line block ×4, first 2 shown]
	v_add_f64 v[110:111], v[48:49], -v[64:65]
	v_add_f64 v[108:109], v[92:93], -v[94:95]
	;; [unrolled: 1-line block ×3, first 2 shown]
	v_add_f64 v[114:115], v[44:45], v[60:61]
	v_add_f64 v[152:153], v[44:45], -v[60:61]
	v_add_f64 v[112:113], v[66:67], v[96:97]
	v_mul_f64 v[154:155], v[62:63], s[6:7]
	v_mul_f64 v[156:157], v[68:69], s[12:13]
	;; [unrolled: 1-line block ×5, first 2 shown]
	v_add_f64 v[54:55], v[54:55], v[92:93]
	v_add_f64 v[48:49], v[90:91], v[48:49]
	v_mul_f64 v[90:91], v[62:63], s[20:21]
	v_mul_f64 v[92:93], v[68:69], s[22:23]
	;; [unrolled: 1-line block ×15, first 2 shown]
	v_fma_f64 v[196:197], v[58:59], s[12:13], v[154:155]
	v_fma_f64 v[198:199], v[84:85], s[4:5], v[156:157]
	v_fma_f64 v[154:155], v[58:59], s[12:13], -v[154:155]
	v_fma_f64 v[156:157], v[84:85], s[6:7], v[156:157]
	v_fma_f64 v[201:202], v[58:59], s[18:19], v[158:159]
	v_add_f64 v[54:55], v[54:55], v[66:67]
	v_add_f64 v[44:45], v[48:49], v[44:45]
	v_fma_f64 v[205:206], v[58:59], s[22:23], v[90:91]
	v_fma_f64 v[207:208], v[84:85], s[26:27], v[92:93]
	v_fma_f64 v[90:91], v[58:59], s[22:23], -v[90:91]
	v_fma_f64 v[92:93], v[84:85], s[20:21], v[92:93]
	v_fma_f64 v[203:204], v[84:85], s[16:17], v[160:161]
	;; [unrolled: 1-line block ×4, first 2 shown]
	v_mul_f64 v[182:183], v[110:111], s[20:21]
	v_mul_f64 v[184:185], v[106:107], s[22:23]
	v_fma_f64 v[158:159], v[58:59], s[18:19], -v[158:159]
	v_fma_f64 v[211:212], v[84:85], s[34:35], v[164:165]
	v_fma_f64 v[162:163], v[58:59], s[28:29], -v[162:163]
	v_fma_f64 v[164:165], v[84:85], s[24:25], v[164:165]
	v_fma_f64 v[213:214], v[58:59], s[36:37], v[62:63]
	;; [unrolled: 1-line block ×3, first 2 shown]
	v_fma_f64 v[58:59], v[58:59], s[36:37], -v[62:63]
	v_fma_f64 v[62:63], v[84:85], s[30:31], v[68:69]
	v_fma_f64 v[68:69], v[100:101], s[18:19], v[166:167]
	v_fma_f64 v[84:85], v[88:89], s[16:17], v[168:169]
	v_add_f64 v[196:197], v[80:81], v[196:197]
	v_add_f64 v[54:55], v[54:55], v[98:99]
	;; [unrolled: 1-line block ×4, first 2 shown]
	v_mul_f64 v[48:49], v[110:111], s[16:17]
	v_mul_f64 v[190:191], v[106:107], s[18:19]
	v_fma_f64 v[224:225], v[100:101], s[36:37], v[174:175]
	v_fma_f64 v[226:227], v[88:89], s[30:31], v[176:177]
	v_fma_f64 v[174:175], v[100:101], s[36:37], -v[174:175]
	v_fma_f64 v[176:177], v[88:89], s[38:39], v[176:177]
	v_add_f64 v[90:91], v[80:81], v[90:91]
	v_add_f64 v[92:93], v[82:83], v[92:93]
	v_mul_f64 v[192:193], v[110:111], s[6:7]
	v_fma_f64 v[166:167], v[100:101], s[18:19], -v[166:167]
	v_fma_f64 v[168:169], v[88:89], s[14:15], v[168:169]
	v_fma_f64 v[221:222], v[88:89], s[34:35], v[172:173]
	;; [unrolled: 1-line block ×4, first 2 shown]
	v_add_f64 v[160:161], v[82:83], v[160:161]
	v_mul_f64 v[186:187], v[110:111], s[38:39]
	v_mul_f64 v[194:195], v[106:107], s[12:13]
	v_fma_f64 v[219:220], v[100:101], s[28:29], v[170:171]
	v_fma_f64 v[170:171], v[100:101], s[28:29], -v[170:171]
	v_add_f64 v[54:55], v[54:55], v[74:75]
	v_add_f64 v[44:45], v[44:45], v[56:57]
	v_fma_f64 v[230:231], v[88:89], s[20:21], v[180:181]
	v_fma_f64 v[178:179], v[100:101], s[22:23], -v[178:179]
	v_fma_f64 v[180:181], v[88:89], s[26:27], v[180:181]
	v_fma_f64 v[232:233], v[100:101], s[12:13], v[102:103]
	;; [unrolled: 1-line block ×3, first 2 shown]
	v_fma_f64 v[100:101], v[100:101], s[12:13], -v[102:103]
	v_fma_f64 v[52:53], v[88:89], s[4:5], v[52:53]
	v_fma_f64 v[88:89], v[104:105], s[22:23], v[182:183]
	;; [unrolled: 1-line block ×3, first 2 shown]
	v_add_f64 v[158:159], v[80:81], v[158:159]
	v_add_f64 v[162:163], v[80:81], v[162:163]
	;; [unrolled: 1-line block ×5, first 2 shown]
	v_mul_f64 v[188:189], v[106:107], s[36:37]
	v_mul_f64 v[110:111], v[110:111], s[24:25]
	v_fma_f64 v[240:241], v[104:105], s[18:19], v[48:49]
	v_fma_f64 v[242:243], v[108:109], s[14:15], v[190:191]
	v_fma_f64 v[48:49], v[104:105], s[18:19], -v[48:49]
	v_fma_f64 v[190:191], v[108:109], s[16:17], v[190:191]
	v_add_f64 v[54:55], v[54:55], v[96:97]
	v_add_f64 v[44:45], v[44:45], v[60:61]
	;; [unrolled: 1-line block ×15, first 2 shown]
	v_mul_f64 v[106:107], v[106:107], s[28:29]
	v_fma_f64 v[182:183], v[104:105], s[22:23], -v[182:183]
	v_fma_f64 v[184:185], v[108:109], s[20:21], v[184:185]
	v_fma_f64 v[236:237], v[104:105], s[36:37], v[186:187]
	v_add_f64 v[213:214], v[82:83], v[217:218]
	v_add_f64 v[52:53], v[52:53], v[62:63]
	;; [unrolled: 1-line block ×9, first 2 shown]
	v_add_f64 v[66:67], v[66:67], -v[96:97]
	v_fma_f64 v[88:89], v[108:109], s[4:5], v[194:195]
	v_add_f64 v[160:161], v[228:229], v[207:208]
	v_add_f64 v[166:167], v[230:231], v[209:210]
	v_mul_f64 v[96:97], v[152:153], s[26:27]
	v_add_f64 v[68:69], v[102:103], v[80:81]
	v_mul_f64 v[80:81], v[114:115], s[28:29]
	v_fma_f64 v[238:239], v[108:109], s[30:31], v[188:189]
	v_fma_f64 v[186:187], v[104:105], s[36:37], -v[186:187]
	v_add_f64 v[84:85], v[221:222], v[201:202]
	v_add_f64 v[94:95], v[170:171], v[158:159]
	;; [unrolled: 1-line block ×3, first 2 shown]
	v_mul_f64 v[100:101], v[114:115], s[22:23]
	v_fma_f64 v[188:189], v[108:109], s[38:39], v[188:189]
	v_add_f64 v[162:163], v[178:179], v[162:163]
	v_add_f64 v[164:165], v[180:181], v[164:165]
	;; [unrolled: 1-line block ×4, first 2 shown]
	v_mul_f64 v[70:71], v[152:153], s[24:25]
	v_fma_f64 v[86:87], v[104:105], s[12:13], v[192:193]
	v_fma_f64 v[102:103], v[104:105], s[12:13], -v[192:193]
	v_fma_f64 v[172:173], v[108:109], s[6:7], v[194:195]
	v_add_f64 v[48:49], v[48:49], v[90:91]
	v_add_f64 v[90:91], v[190:191], v[92:93]
	v_fma_f64 v[92:93], v[104:105], s[28:29], -v[110:111]
	v_add_f64 v[156:157], v[224:225], v[203:204]
	v_fma_f64 v[174:175], v[104:105], s[28:29], v[110:111]
	v_mul_f64 v[110:111], v[152:153], s[6:7]
	v_add_f64 v[158:159], v[226:227], v[205:206]
	v_add_f64 v[60:61], v[182:183], v[60:61]
	v_fma_f64 v[176:177], v[108:109], s[34:35], v[106:107]
	v_fma_f64 v[104:105], v[108:109], s[24:25], v[106:107]
	v_add_f64 v[64:65], v[184:185], v[64:65]
	v_add_f64 v[82:83], v[236:237], v[82:83]
	v_fma_f64 v[108:109], v[66:67], s[34:35], v[80:81]
	v_add_f64 v[88:89], v[88:89], v[166:167]
	v_fma_f64 v[80:81], v[66:67], s[24:25], v[80:81]
	v_fma_f64 v[166:167], v[112:113], s[22:23], v[96:97]
	v_add_f64 v[84:85], v[238:239], v[84:85]
	v_add_f64 v[94:95], v[186:187], v[94:95]
	v_fma_f64 v[106:107], v[112:113], s[28:29], v[70:71]
	v_add_f64 v[86:87], v[86:87], v[160:161]
	v_fma_f64 v[70:71], v[112:113], s[28:29], -v[70:71]
	v_mul_f64 v[160:161], v[114:115], s[12:13]
	v_fma_f64 v[178:179], v[66:67], s[20:21], v[100:101]
	v_fma_f64 v[96:97], v[112:113], s[22:23], -v[96:97]
	v_add_f64 v[154:155], v[188:189], v[154:155]
	v_add_f64 v[102:103], v[102:103], v[162:163]
	v_fma_f64 v[100:101], v[66:67], s[26:27], v[100:101]
	v_add_f64 v[162:163], v[172:173], v[164:165]
	v_mul_f64 v[164:165], v[152:153], s[30:31]
	v_mul_f64 v[172:173], v[114:115], s[36:37]
	;; [unrolled: 1-line block ×4, first 2 shown]
	v_add_f64 v[58:59], v[92:93], v[58:59]
	v_add_f64 v[92:93], v[72:73], -v[56:57]
	v_add_f64 v[56:57], v[72:73], v[56:57]
	v_add_f64 v[168:169], v[232:233], v[211:212]
	;; [unrolled: 1-line block ×3, first 2 shown]
	v_fma_f64 v[72:73], v[112:113], s[12:13], v[110:111]
	v_add_f64 v[170:171], v[234:235], v[213:214]
	v_add_f64 v[158:159], v[242:243], v[158:159]
	;; [unrolled: 1-line block ×5, first 2 shown]
	v_fma_f64 v[60:61], v[66:67], s[4:5], v[160:161]
	v_add_f64 v[64:65], v[166:167], v[82:83]
	v_fma_f64 v[82:83], v[112:113], s[12:13], -v[110:111]
	v_add_f64 v[80:81], v[178:179], v[84:85]
	v_add_f64 v[84:85], v[96:97], v[94:95]
	v_fma_f64 v[96:97], v[66:67], s[6:7], v[160:161]
	v_add_f64 v[62:63], v[106:107], v[62:63]
	v_add_f64 v[68:69], v[108:109], v[68:69]
	;; [unrolled: 1-line block ×3, first 2 shown]
	v_fma_f64 v[100:101], v[112:113], s[36:37], v[164:165]
	v_fma_f64 v[106:107], v[66:67], s[38:39], v[172:173]
	v_fma_f64 v[108:109], v[112:113], s[36:37], -v[164:165]
	v_fma_f64 v[110:111], v[66:67], s[30:31], v[172:173]
	v_fma_f64 v[154:155], v[112:113], s[18:19], v[152:153]
	;; [unrolled: 1-line block ×3, first 2 shown]
	v_fma_f64 v[112:113], v[112:113], s[18:19], -v[152:153]
	v_fma_f64 v[66:67], v[66:67], s[16:17], v[114:115]
	v_add_f64 v[114:115], v[98:99], v[74:75]
	v_add_f64 v[74:75], v[98:99], -v[74:75]
	v_mul_f64 v[98:99], v[92:93], s[30:31]
	v_mul_f64 v[152:153], v[56:57], s[36:37]
	v_add_f64 v[168:169], v[174:175], v[168:169]
	v_add_f64 v[72:73], v[72:73], v[156:157]
	v_mul_f64 v[156:157], v[92:93], s[4:5]
	v_mul_f64 v[164:165], v[56:57], s[12:13]
	v_add_f64 v[170:171], v[176:177], v[170:171]
	v_add_f64 v[158:159], v[60:61], v[158:159]
	v_mul_f64 v[60:61], v[92:93], s[24:25]
	v_mul_f64 v[166:167], v[56:57], s[28:29]
	v_add_f64 v[82:83], v[82:83], v[48:49]
	v_mul_f64 v[48:49], v[92:93], s[16:17]
	v_mul_f64 v[172:173], v[56:57], s[18:19]
	;; [unrolled: 3-line block ×3, first 2 shown]
	v_add_f64 v[86:87], v[100:101], v[86:87]
	v_add_f64 v[100:101], v[110:111], v[162:163]
	;; [unrolled: 1-line block ×6, first 2 shown]
	v_fma_f64 v[52:53], v[114:115], s[36:37], v[98:99]
	v_fma_f64 v[66:67], v[74:75], s[38:39], v[152:153]
	v_add_f64 v[102:103], v[154:155], v[168:169]
	v_fma_f64 v[98:99], v[114:115], s[36:37], -v[98:99]
	v_fma_f64 v[112:113], v[114:115], s[12:13], v[156:157]
	v_fma_f64 v[154:155], v[74:75], s[6:7], v[164:165]
	v_add_f64 v[106:107], v[160:161], v[170:171]
	v_fma_f64 v[156:157], v[114:115], s[12:13], -v[156:157]
	v_fma_f64 v[160:161], v[114:115], s[28:29], v[60:61]
	v_fma_f64 v[162:163], v[74:75], s[34:35], v[166:167]
	v_fma_f64 v[168:169], v[114:115], s[28:29], -v[60:61]
	v_fma_f64 v[170:171], v[114:115], s[18:19], v[48:49]
	v_fma_f64 v[174:175], v[74:75], s[14:15], v[172:173]
	;; [unrolled: 3-line block ×4, first 2 shown]
	v_fma_f64 v[166:167], v[74:75], s[24:25], v[166:167]
	v_fma_f64 v[164:165], v[74:75], s[4:5], v[164:165]
	;; [unrolled: 1-line block ×3, first 2 shown]
	v_add_f64 v[56:57], v[54:55], v[50:51]
	v_add_f64 v[58:59], v[44:45], v[46:47]
	;; [unrolled: 1-line block ×22, first 2 shown]
	ds_write_b128 v223, v[56:59]
	ds_write_b128 v223, v[60:63] offset:528
	ds_write_b128 v223, v[64:67] offset:1056
	;; [unrolled: 1-line block ×10, first 2 shown]
	s_waitcnt lgkmcnt(0)
	s_barrier
	buffer_gl0_inv
	ds_read_b128 v[56:59], v216
	ds_read_b128 v[60:63], v216 offset:2112
	ds_read_b128 v[80:83], v216 offset:5808
	;; [unrolled: 1-line block ×7, first 2 shown]
	s_and_saveexec_b32 s1, s0
	s_cbranch_execz .LBB0_15
; %bb.14:
	ds_read_b128 v[44:47], v216 offset:4224
	ds_read_b128 v[48:51], v216 offset:10032
	;; [unrolled: 1-line block ×4, first 2 shown]
.LBB0_15:
	s_or_b32 exec_lo, exec_lo, s1
	s_waitcnt lgkmcnt(5)
	v_mul_f64 v[92:93], v[130:131], v[82:83]
	v_mul_f64 v[94:95], v[130:131], v[80:81]
	s_waitcnt lgkmcnt(3)
	v_mul_f64 v[96:97], v[134:135], v[86:87]
	v_mul_f64 v[98:99], v[134:135], v[84:85]
	s_waitcnt lgkmcnt(1)
	v_mul_f64 v[100:101], v[138:139], v[90:91]
	v_mul_f64 v[102:103], v[138:139], v[88:89]
	v_mul_f64 v[104:105], v[142:143], v[66:67]
	v_mul_f64 v[106:107], v[142:143], v[64:65]
	;; [unrolled: 1-line block ×4, first 2 shown]
	s_waitcnt lgkmcnt(0)
	v_mul_f64 v[112:113], v[146:147], v[74:75]
	v_mul_f64 v[114:115], v[146:147], v[72:73]
	v_fma_f64 v[80:81], v[128:129], v[80:81], v[92:93]
	v_fma_f64 v[82:83], v[128:129], v[82:83], -v[94:95]
	v_fma_f64 v[84:85], v[132:133], v[84:85], v[96:97]
	v_fma_f64 v[86:87], v[132:133], v[86:87], -v[98:99]
	;; [unrolled: 2-line block ×6, first 2 shown]
	v_add_f64 v[84:85], v[56:57], -v[84:85]
	v_add_f64 v[86:87], v[58:59], -v[86:87]
	;; [unrolled: 1-line block ×8, first 2 shown]
	v_fma_f64 v[96:97], v[56:57], 2.0, -v[84:85]
	v_fma_f64 v[98:99], v[58:59], 2.0, -v[86:87]
	;; [unrolled: 1-line block ×4, first 2 shown]
	v_add_f64 v[56:57], v[84:85], v[90:91]
	v_add_f64 v[58:59], v[86:87], -v[88:89]
	v_fma_f64 v[100:101], v[60:61], 2.0, -v[92:93]
	v_fma_f64 v[102:103], v[62:63], 2.0, -v[94:95]
	v_fma_f64 v[80:81], v[64:65], 2.0, -v[68:69]
	v_fma_f64 v[82:83], v[66:67], 2.0, -v[70:71]
	v_add_f64 v[60:61], v[92:93], v[70:71]
	v_add_f64 v[62:63], v[94:95], -v[68:69]
	v_add_f64 v[64:65], v[96:97], -v[72:73]
	v_add_f64 v[66:67], v[98:99], -v[74:75]
	v_fma_f64 v[72:73], v[84:85], 2.0, -v[56:57]
	v_fma_f64 v[74:75], v[86:87], 2.0, -v[58:59]
	v_add_f64 v[68:69], v[100:101], -v[80:81]
	v_add_f64 v[70:71], v[102:103], -v[82:83]
	v_fma_f64 v[80:81], v[92:93], 2.0, -v[60:61]
	v_fma_f64 v[82:83], v[94:95], 2.0, -v[62:63]
	;; [unrolled: 1-line block ×6, first 2 shown]
	ds_write_b128 v216, v[56:59] offset:17424
	ds_write_b128 v216, v[72:75] offset:5808
	;; [unrolled: 1-line block ×5, first 2 shown]
	ds_write_b128 v216, v[84:87]
	ds_write_b128 v216, v[88:91] offset:2112
	ds_write_b128 v216, v[60:63] offset:19536
	s_and_saveexec_b32 s1, s0
	s_cbranch_execz .LBB0_17
; %bb.16:
	v_mul_f64 v[56:57], v[126:127], v[52:53]
	v_mul_f64 v[58:59], v[118:119], v[50:51]
	;; [unrolled: 1-line block ×6, first 2 shown]
	v_fma_f64 v[54:55], v[124:125], v[54:55], -v[56:57]
	v_fma_f64 v[48:49], v[116:117], v[48:49], v[58:59]
	v_fma_f64 v[50:51], v[116:117], v[50:51], -v[60:61]
	v_fma_f64 v[56:57], v[120:121], v[78:79], -v[62:63]
	v_fma_f64 v[52:53], v[124:125], v[52:53], v[64:65]
	v_fma_f64 v[58:59], v[120:121], v[76:77], v[66:67]
	v_add_f64 v[54:55], v[46:47], -v[54:55]
	v_add_f64 v[56:57], v[50:51], -v[56:57]
	;; [unrolled: 1-line block ×4, first 2 shown]
	v_fma_f64 v[60:61], v[46:47], 2.0, -v[54:55]
	v_fma_f64 v[50:51], v[50:51], 2.0, -v[56:57]
	;; [unrolled: 1-line block ×4, first 2 shown]
	v_add_f64 v[46:47], v[54:55], -v[58:59]
	v_add_f64 v[44:45], v[52:53], v[56:57]
	v_add_f64 v[50:51], v[60:61], -v[50:51]
	v_add_f64 v[48:49], v[62:63], -v[48:49]
	v_fma_f64 v[54:55], v[54:55], 2.0, -v[46:47]
	v_fma_f64 v[52:53], v[52:53], 2.0, -v[44:45]
	v_fma_f64 v[58:59], v[60:61], 2.0, -v[50:51]
	v_fma_f64 v[56:57], v[62:63], 2.0, -v[48:49]
	ds_write_b128 v216, v[52:55] offset:10032
	ds_write_b128 v216, v[48:51] offset:15840
	;; [unrolled: 1-line block ×4, first 2 shown]
.LBB0_17:
	s_or_b32 exec_lo, exec_lo, s1
	s_waitcnt lgkmcnt(0)
	s_barrier
	buffer_gl0_inv
	ds_read_b128 v[44:47], v216
	ds_read_b128 v[48:51], v216 offset:2112
	ds_read_b128 v[52:55], v216 offset:4224
	v_mad_u64_u32 v[88:89], null, s10, v200, 0
	v_mad_u64_u32 v[90:91], null, s8, v215, 0
	ds_read_b128 v[56:59], v216 offset:6336
	ds_read_b128 v[60:63], v216 offset:8448
	;; [unrolled: 1-line block ×3, first 2 shown]
	s_mov_b32 s0, 0x3a88d0c0
	s_mov_b32 s1, 0x3f469147
	ds_read_b128 v[68:71], v216 offset:12672
	ds_read_b128 v[72:75], v216 offset:14784
	;; [unrolled: 1-line block ×5, first 2 shown]
	s_mul_i32 s5, s9, 0x840
	v_mad_u64_u32 v[98:99], null, s11, v200, v[89:90]
	s_mul_hi_u32 s6, s8, 0x840
	s_mul_i32 s4, s8, 0x840
	s_add_i32 s6, s6, s5
	s_waitcnt lgkmcnt(10)
	v_mul_f64 v[92:93], v[2:3], v[46:47]
	v_mul_f64 v[2:3], v[2:3], v[44:45]
	s_waitcnt lgkmcnt(9)
	v_mul_f64 v[94:95], v[30:31], v[50:51]
	v_mul_f64 v[30:31], v[30:31], v[48:49]
	;; [unrolled: 3-line block ×3, first 2 shown]
	v_mov_b32_e32 v89, v98
	s_waitcnt lgkmcnt(6)
	v_mul_f64 v[102:103], v[18:19], v[62:63]
	v_fma_f64 v[44:45], v[0:1], v[44:45], v[92:93]
	v_fma_f64 v[2:3], v[0:1], v[46:47], -v[2:3]
	v_mad_u64_u32 v[99:100], null, s9, v215, v[91:92]
	v_lshlrev_b64 v[0:1], 4, v[88:89]
	v_mul_f64 v[100:101], v[22:23], v[58:59]
	v_mul_f64 v[22:23], v[22:23], v[56:57]
	;; [unrolled: 1-line block ×3, first 2 shown]
	v_fma_f64 v[18:19], v[28:29], v[48:49], v[94:95]
	v_fma_f64 v[28:29], v[28:29], v[50:51], -v[30:31]
	v_fma_f64 v[30:31], v[24:25], v[52:53], v[96:97]
	v_fma_f64 v[24:25], v[24:25], v[54:55], -v[26:27]
	v_add_co_u32 v88, vcc_lo, s2, v0
	v_add_co_ci_u32_e32 v89, vcc_lo, s3, v1, vcc_lo
	v_mov_b32_e32 v91, v99
	s_waitcnt lgkmcnt(5)
	v_mul_f64 v[92:93], v[6:7], v[66:67]
	v_mul_f64 v[6:7], v[6:7], v[64:65]
	s_waitcnt lgkmcnt(4)
	v_mul_f64 v[26:27], v[10:11], v[70:71]
	v_mul_f64 v[10:11], v[10:11], v[68:69]
	v_lshlrev_b64 v[52:53], 4, v[90:91]
	v_mul_f64 v[0:1], v[44:45], s[0:1]
	v_mul_f64 v[2:3], v[2:3], s[0:1]
	s_waitcnt lgkmcnt(3)
	v_mul_f64 v[48:49], v[14:15], v[74:75]
	v_mul_f64 v[14:15], v[14:15], v[72:73]
	s_waitcnt lgkmcnt(2)
	v_mul_f64 v[50:51], v[34:35], v[78:79]
	v_fma_f64 v[44:45], v[20:21], v[56:57], v[100:101]
	v_fma_f64 v[54:55], v[20:21], v[58:59], -v[22:23]
	s_waitcnt lgkmcnt(0)
	v_mul_f64 v[56:57], v[42:43], v[86:87]
	v_mul_f64 v[18:19], v[18:19], s[0:1]
	;; [unrolled: 1-line block ×3, first 2 shown]
	v_add_co_u32 v28, vcc_lo, v88, v52
	v_add_co_ci_u32_e32 v29, vcc_lo, v89, v53, vcc_lo
	v_mul_f64 v[22:23], v[30:31], s[0:1]
	v_mul_f64 v[24:25], v[24:25], s[0:1]
	;; [unrolled: 1-line block ×3, first 2 shown]
	v_add_co_u32 v34, vcc_lo, v28, s4
	v_fma_f64 v[52:53], v[16:17], v[60:61], v[102:103]
	v_fma_f64 v[16:17], v[16:17], v[62:63], -v[46:47]
	v_add_co_ci_u32_e32 v35, vcc_lo, s6, v29, vcc_lo
	global_store_dwordx4 v[28:29], v[0:3], off
	v_mul_f64 v[28:29], v[38:39], v[82:83]
	v_mul_f64 v[38:39], v[38:39], v[80:81]
	;; [unrolled: 1-line block ×3, first 2 shown]
	v_add_co_u32 v46, vcc_lo, v34, s4
	v_add_co_ci_u32_e32 v47, vcc_lo, s6, v35, vcc_lo
	global_store_dwordx4 v[34:35], v[18:21], off
	global_store_dwordx4 v[46:47], v[22:25], off
	v_fma_f64 v[18:19], v[4:5], v[64:65], v[92:93]
	v_fma_f64 v[20:21], v[4:5], v[66:67], -v[6:7]
	v_fma_f64 v[22:23], v[8:9], v[68:69], v[26:27]
	v_fma_f64 v[24:25], v[8:9], v[70:71], -v[10:11]
	v_fma_f64 v[26:27], v[12:13], v[74:75], -v[14:15]
	v_mul_f64 v[6:7], v[16:17], s[0:1]
	v_fma_f64 v[16:17], v[12:13], v[72:73], v[48:49]
	v_mul_f64 v[0:1], v[44:45], s[0:1]
	v_fma_f64 v[44:45], v[32:33], v[76:77], v[50:51]
	v_fma_f64 v[30:31], v[32:33], v[78:79], -v[30:31]
	v_fma_f64 v[28:29], v[36:37], v[80:81], v[28:29]
	v_fma_f64 v[32:33], v[36:37], v[82:83], -v[38:39]
	;; [unrolled: 2-line block ×3, first 2 shown]
	v_add_co_u32 v34, vcc_lo, v46, s4
	v_add_co_ci_u32_e32 v35, vcc_lo, s6, v47, vcc_lo
	v_mul_f64 v[2:3], v[54:55], s[0:1]
	v_add_co_u32 v40, vcc_lo, v34, s4
	v_add_co_ci_u32_e32 v41, vcc_lo, s6, v35, vcc_lo
	v_mul_f64 v[4:5], v[52:53], s[0:1]
	;; [unrolled: 3-line block ×3, first 2 shown]
	v_add_co_u32 v46, vcc_lo, v42, s4
	v_mul_f64 v[10:11], v[20:21], s[0:1]
	v_mul_f64 v[12:13], v[22:23], s[0:1]
	;; [unrolled: 1-line block ×3, first 2 shown]
	v_add_co_ci_u32_e32 v47, vcc_lo, s6, v43, vcc_lo
	v_mul_f64 v[16:17], v[16:17], s[0:1]
	v_mul_f64 v[18:19], v[26:27], s[0:1]
	;; [unrolled: 1-line block ×8, first 2 shown]
	v_add_co_u32 v32, vcc_lo, v46, s4
	v_add_co_ci_u32_e32 v33, vcc_lo, s6, v47, vcc_lo
	global_store_dwordx4 v[34:35], v[0:3], off
	v_add_co_u32 v0, vcc_lo, v32, s4
	v_add_co_ci_u32_e32 v1, vcc_lo, s6, v33, vcc_lo
	global_store_dwordx4 v[40:41], v[4:7], off
	;; [unrolled: 3-line block ×4, first 2 shown]
	global_store_dwordx4 v[32:33], v[16:19], off
	global_store_dwordx4 v[0:1], v[20:23], off
	;; [unrolled: 1-line block ×4, first 2 shown]
.LBB0_18:
	s_endpgm
	.section	.rodata,"a",@progbits
	.p2align	6, 0x0
	.amdhsa_kernel bluestein_single_back_len1452_dim1_dp_op_CI_CI
		.amdhsa_group_segment_fixed_size 23232
		.amdhsa_private_segment_fixed_size 0
		.amdhsa_kernarg_size 104
		.amdhsa_user_sgpr_count 6
		.amdhsa_user_sgpr_private_segment_buffer 1
		.amdhsa_user_sgpr_dispatch_ptr 0
		.amdhsa_user_sgpr_queue_ptr 0
		.amdhsa_user_sgpr_kernarg_segment_ptr 1
		.amdhsa_user_sgpr_dispatch_id 0
		.amdhsa_user_sgpr_flat_scratch_init 0
		.amdhsa_user_sgpr_private_segment_size 0
		.amdhsa_wavefront_size32 1
		.amdhsa_uses_dynamic_stack 0
		.amdhsa_system_sgpr_private_segment_wavefront_offset 0
		.amdhsa_system_sgpr_workgroup_id_x 1
		.amdhsa_system_sgpr_workgroup_id_y 0
		.amdhsa_system_sgpr_workgroup_id_z 0
		.amdhsa_system_sgpr_workgroup_info 0
		.amdhsa_system_vgpr_workitem_id 0
		.amdhsa_next_free_vgpr 250
		.amdhsa_next_free_sgpr 40
		.amdhsa_reserve_vcc 1
		.amdhsa_reserve_flat_scratch 0
		.amdhsa_float_round_mode_32 0
		.amdhsa_float_round_mode_16_64 0
		.amdhsa_float_denorm_mode_32 3
		.amdhsa_float_denorm_mode_16_64 3
		.amdhsa_dx10_clamp 1
		.amdhsa_ieee_mode 1
		.amdhsa_fp16_overflow 0
		.amdhsa_workgroup_processor_mode 1
		.amdhsa_memory_ordered 1
		.amdhsa_forward_progress 0
		.amdhsa_shared_vgpr_count 0
		.amdhsa_exception_fp_ieee_invalid_op 0
		.amdhsa_exception_fp_denorm_src 0
		.amdhsa_exception_fp_ieee_div_zero 0
		.amdhsa_exception_fp_ieee_overflow 0
		.amdhsa_exception_fp_ieee_underflow 0
		.amdhsa_exception_fp_ieee_inexact 0
		.amdhsa_exception_int_div_zero 0
	.end_amdhsa_kernel
	.text
.Lfunc_end0:
	.size	bluestein_single_back_len1452_dim1_dp_op_CI_CI, .Lfunc_end0-bluestein_single_back_len1452_dim1_dp_op_CI_CI
                                        ; -- End function
	.section	.AMDGPU.csdata,"",@progbits
; Kernel info:
; codeLenInByte = 19456
; NumSgprs: 42
; NumVgprs: 250
; ScratchSize: 0
; MemoryBound: 0
; FloatMode: 240
; IeeeMode: 1
; LDSByteSize: 23232 bytes/workgroup (compile time only)
; SGPRBlocks: 5
; VGPRBlocks: 31
; NumSGPRsForWavesPerEU: 42
; NumVGPRsForWavesPerEU: 250
; Occupancy: 4
; WaveLimiterHint : 1
; COMPUTE_PGM_RSRC2:SCRATCH_EN: 0
; COMPUTE_PGM_RSRC2:USER_SGPR: 6
; COMPUTE_PGM_RSRC2:TRAP_HANDLER: 0
; COMPUTE_PGM_RSRC2:TGID_X_EN: 1
; COMPUTE_PGM_RSRC2:TGID_Y_EN: 0
; COMPUTE_PGM_RSRC2:TGID_Z_EN: 0
; COMPUTE_PGM_RSRC2:TIDIG_COMP_CNT: 0
	.text
	.p2alignl 6, 3214868480
	.fill 48, 4, 3214868480
	.type	__hip_cuid_4527bddbdd838959,@object ; @__hip_cuid_4527bddbdd838959
	.section	.bss,"aw",@nobits
	.globl	__hip_cuid_4527bddbdd838959
__hip_cuid_4527bddbdd838959:
	.byte	0                               ; 0x0
	.size	__hip_cuid_4527bddbdd838959, 1

	.ident	"AMD clang version 19.0.0git (https://github.com/RadeonOpenCompute/llvm-project roc-6.4.0 25133 c7fe45cf4b819c5991fe208aaa96edf142730f1d)"
	.section	".note.GNU-stack","",@progbits
	.addrsig
	.addrsig_sym __hip_cuid_4527bddbdd838959
	.amdgpu_metadata
---
amdhsa.kernels:
  - .args:
      - .actual_access:  read_only
        .address_space:  global
        .offset:         0
        .size:           8
        .value_kind:     global_buffer
      - .actual_access:  read_only
        .address_space:  global
        .offset:         8
        .size:           8
        .value_kind:     global_buffer
      - .actual_access:  read_only
        .address_space:  global
        .offset:         16
        .size:           8
        .value_kind:     global_buffer
      - .actual_access:  read_only
        .address_space:  global
        .offset:         24
        .size:           8
        .value_kind:     global_buffer
      - .actual_access:  read_only
        .address_space:  global
        .offset:         32
        .size:           8
        .value_kind:     global_buffer
      - .offset:         40
        .size:           8
        .value_kind:     by_value
      - .address_space:  global
        .offset:         48
        .size:           8
        .value_kind:     global_buffer
      - .address_space:  global
        .offset:         56
        .size:           8
        .value_kind:     global_buffer
      - .address_space:  global
        .offset:         64
        .size:           8
        .value_kind:     global_buffer
      - .address_space:  global
        .offset:         72
        .size:           8
        .value_kind:     global_buffer
      - .offset:         80
        .size:           4
        .value_kind:     by_value
      - .address_space:  global
        .offset:         88
        .size:           8
        .value_kind:     global_buffer
      - .address_space:  global
        .offset:         96
        .size:           8
        .value_kind:     global_buffer
    .group_segment_fixed_size: 23232
    .kernarg_segment_align: 8
    .kernarg_segment_size: 104
    .language:       OpenCL C
    .language_version:
      - 2
      - 0
    .max_flat_workgroup_size: 132
    .name:           bluestein_single_back_len1452_dim1_dp_op_CI_CI
    .private_segment_fixed_size: 0
    .sgpr_count:     42
    .sgpr_spill_count: 0
    .symbol:         bluestein_single_back_len1452_dim1_dp_op_CI_CI.kd
    .uniform_work_group_size: 1
    .uses_dynamic_stack: false
    .vgpr_count:     250
    .vgpr_spill_count: 0
    .wavefront_size: 32
    .workgroup_processor_mode: 1
amdhsa.target:   amdgcn-amd-amdhsa--gfx1030
amdhsa.version:
  - 1
  - 2
...

	.end_amdgpu_metadata
